;; amdgpu-corpus repo=ROCm/rocFFT kind=compiled arch=gfx1100 opt=O3
	.text
	.amdgcn_target "amdgcn-amd-amdhsa--gfx1100"
	.amdhsa_code_object_version 6
	.protected	fft_rtc_fwd_len2700_factors_3_10_10_3_3_wgs_90_tpt_90_halfLds_sp_ip_CI_unitstride_sbrr_R2C_dirReg ; -- Begin function fft_rtc_fwd_len2700_factors_3_10_10_3_3_wgs_90_tpt_90_halfLds_sp_ip_CI_unitstride_sbrr_R2C_dirReg
	.globl	fft_rtc_fwd_len2700_factors_3_10_10_3_3_wgs_90_tpt_90_halfLds_sp_ip_CI_unitstride_sbrr_R2C_dirReg
	.p2align	8
	.type	fft_rtc_fwd_len2700_factors_3_10_10_3_3_wgs_90_tpt_90_halfLds_sp_ip_CI_unitstride_sbrr_R2C_dirReg,@function
fft_rtc_fwd_len2700_factors_3_10_10_3_3_wgs_90_tpt_90_halfLds_sp_ip_CI_unitstride_sbrr_R2C_dirReg: ; @fft_rtc_fwd_len2700_factors_3_10_10_3_3_wgs_90_tpt_90_halfLds_sp_ip_CI_unitstride_sbrr_R2C_dirReg
; %bb.0:
	s_clause 0x2
	s_load_b128 s[4:7], s[0:1], 0x0
	s_load_b64 s[8:9], s[0:1], 0x50
	s_load_b64 s[10:11], s[0:1], 0x18
	v_mul_u32_u24_e32 v1, 0x2d9, v0
	v_mov_b32_e32 v3, 0
	v_mov_b32_e32 v4, 0
	s_delay_alu instid0(VALU_DEP_3) | instskip(SKIP_1) | instid1(VALU_DEP_1)
	v_lshrrev_b32_e32 v2, 16, v1
	v_mov_b32_e32 v1, 0
	v_dual_mov_b32 v6, v1 :: v_dual_add_nc_u32 v5, s15, v2
	s_waitcnt lgkmcnt(0)
	v_cmp_lt_u64_e64 s2, s[6:7], 2
	s_delay_alu instid0(VALU_DEP_1)
	s_and_b32 vcc_lo, exec_lo, s2
	s_cbranch_vccnz .LBB0_8
; %bb.1:
	s_load_b64 s[2:3], s[0:1], 0x10
	v_mov_b32_e32 v3, 0
	s_add_u32 s12, s10, 8
	v_mov_b32_e32 v4, 0
	s_addc_u32 s13, s11, 0
	s_mov_b64 s[16:17], 1
	s_waitcnt lgkmcnt(0)
	s_add_u32 s14, s2, 8
	s_addc_u32 s15, s3, 0
.LBB0_2:                                ; =>This Inner Loop Header: Depth=1
	s_load_b64 s[18:19], s[14:15], 0x0
                                        ; implicit-def: $vgpr7_vgpr8
	s_mov_b32 s2, exec_lo
	s_waitcnt lgkmcnt(0)
	v_or_b32_e32 v2, s19, v6
	s_delay_alu instid0(VALU_DEP_1)
	v_cmpx_ne_u64_e32 0, v[1:2]
	s_xor_b32 s3, exec_lo, s2
	s_cbranch_execz .LBB0_4
; %bb.3:                                ;   in Loop: Header=BB0_2 Depth=1
	v_cvt_f32_u32_e32 v2, s18
	v_cvt_f32_u32_e32 v7, s19
	s_sub_u32 s2, 0, s18
	s_subb_u32 s20, 0, s19
	s_delay_alu instid0(VALU_DEP_1) | instskip(NEXT) | instid1(VALU_DEP_1)
	v_fmac_f32_e32 v2, 0x4f800000, v7
	v_rcp_f32_e32 v2, v2
	s_waitcnt_depctr 0xfff
	v_mul_f32_e32 v2, 0x5f7ffffc, v2
	s_delay_alu instid0(VALU_DEP_1) | instskip(NEXT) | instid1(VALU_DEP_1)
	v_mul_f32_e32 v7, 0x2f800000, v2
	v_trunc_f32_e32 v7, v7
	s_delay_alu instid0(VALU_DEP_1) | instskip(SKIP_1) | instid1(VALU_DEP_2)
	v_fmac_f32_e32 v2, 0xcf800000, v7
	v_cvt_u32_f32_e32 v7, v7
	v_cvt_u32_f32_e32 v2, v2
	s_delay_alu instid0(VALU_DEP_2) | instskip(NEXT) | instid1(VALU_DEP_2)
	v_mul_lo_u32 v8, s2, v7
	v_mul_hi_u32 v9, s2, v2
	v_mul_lo_u32 v10, s20, v2
	s_delay_alu instid0(VALU_DEP_2) | instskip(SKIP_1) | instid1(VALU_DEP_2)
	v_add_nc_u32_e32 v8, v9, v8
	v_mul_lo_u32 v9, s2, v2
	v_add_nc_u32_e32 v8, v8, v10
	s_delay_alu instid0(VALU_DEP_2) | instskip(NEXT) | instid1(VALU_DEP_2)
	v_mul_hi_u32 v10, v2, v9
	v_mul_lo_u32 v11, v2, v8
	v_mul_hi_u32 v12, v2, v8
	v_mul_hi_u32 v13, v7, v9
	v_mul_lo_u32 v9, v7, v9
	v_mul_hi_u32 v14, v7, v8
	v_mul_lo_u32 v8, v7, v8
	v_add_co_u32 v10, vcc_lo, v10, v11
	v_add_co_ci_u32_e32 v11, vcc_lo, 0, v12, vcc_lo
	s_delay_alu instid0(VALU_DEP_2) | instskip(NEXT) | instid1(VALU_DEP_2)
	v_add_co_u32 v9, vcc_lo, v10, v9
	v_add_co_ci_u32_e32 v9, vcc_lo, v11, v13, vcc_lo
	v_add_co_ci_u32_e32 v10, vcc_lo, 0, v14, vcc_lo
	s_delay_alu instid0(VALU_DEP_2) | instskip(NEXT) | instid1(VALU_DEP_2)
	v_add_co_u32 v8, vcc_lo, v9, v8
	v_add_co_ci_u32_e32 v9, vcc_lo, 0, v10, vcc_lo
	s_delay_alu instid0(VALU_DEP_2) | instskip(NEXT) | instid1(VALU_DEP_2)
	v_add_co_u32 v2, vcc_lo, v2, v8
	v_add_co_ci_u32_e32 v7, vcc_lo, v7, v9, vcc_lo
	s_delay_alu instid0(VALU_DEP_2) | instskip(SKIP_1) | instid1(VALU_DEP_3)
	v_mul_hi_u32 v8, s2, v2
	v_mul_lo_u32 v10, s20, v2
	v_mul_lo_u32 v9, s2, v7
	s_delay_alu instid0(VALU_DEP_1) | instskip(SKIP_1) | instid1(VALU_DEP_2)
	v_add_nc_u32_e32 v8, v8, v9
	v_mul_lo_u32 v9, s2, v2
	v_add_nc_u32_e32 v8, v8, v10
	s_delay_alu instid0(VALU_DEP_2) | instskip(NEXT) | instid1(VALU_DEP_2)
	v_mul_hi_u32 v10, v2, v9
	v_mul_lo_u32 v11, v2, v8
	v_mul_hi_u32 v12, v2, v8
	v_mul_hi_u32 v13, v7, v9
	v_mul_lo_u32 v9, v7, v9
	v_mul_hi_u32 v14, v7, v8
	v_mul_lo_u32 v8, v7, v8
	v_add_co_u32 v10, vcc_lo, v10, v11
	v_add_co_ci_u32_e32 v11, vcc_lo, 0, v12, vcc_lo
	s_delay_alu instid0(VALU_DEP_2) | instskip(NEXT) | instid1(VALU_DEP_2)
	v_add_co_u32 v9, vcc_lo, v10, v9
	v_add_co_ci_u32_e32 v9, vcc_lo, v11, v13, vcc_lo
	v_add_co_ci_u32_e32 v10, vcc_lo, 0, v14, vcc_lo
	s_delay_alu instid0(VALU_DEP_2) | instskip(NEXT) | instid1(VALU_DEP_2)
	v_add_co_u32 v8, vcc_lo, v9, v8
	v_add_co_ci_u32_e32 v9, vcc_lo, 0, v10, vcc_lo
	s_delay_alu instid0(VALU_DEP_2) | instskip(NEXT) | instid1(VALU_DEP_2)
	v_add_co_u32 v2, vcc_lo, v2, v8
	v_add_co_ci_u32_e32 v13, vcc_lo, v7, v9, vcc_lo
	s_delay_alu instid0(VALU_DEP_2) | instskip(SKIP_1) | instid1(VALU_DEP_3)
	v_mul_hi_u32 v14, v5, v2
	v_mad_u64_u32 v[9:10], null, v6, v2, 0
	v_mad_u64_u32 v[7:8], null, v5, v13, 0
	;; [unrolled: 1-line block ×3, first 2 shown]
	s_delay_alu instid0(VALU_DEP_2) | instskip(NEXT) | instid1(VALU_DEP_3)
	v_add_co_u32 v2, vcc_lo, v14, v7
	v_add_co_ci_u32_e32 v7, vcc_lo, 0, v8, vcc_lo
	s_delay_alu instid0(VALU_DEP_2) | instskip(NEXT) | instid1(VALU_DEP_2)
	v_add_co_u32 v2, vcc_lo, v2, v9
	v_add_co_ci_u32_e32 v2, vcc_lo, v7, v10, vcc_lo
	v_add_co_ci_u32_e32 v7, vcc_lo, 0, v12, vcc_lo
	s_delay_alu instid0(VALU_DEP_2) | instskip(NEXT) | instid1(VALU_DEP_2)
	v_add_co_u32 v2, vcc_lo, v2, v11
	v_add_co_ci_u32_e32 v9, vcc_lo, 0, v7, vcc_lo
	s_delay_alu instid0(VALU_DEP_2) | instskip(SKIP_1) | instid1(VALU_DEP_3)
	v_mul_lo_u32 v10, s19, v2
	v_mad_u64_u32 v[7:8], null, s18, v2, 0
	v_mul_lo_u32 v11, s18, v9
	s_delay_alu instid0(VALU_DEP_2) | instskip(NEXT) | instid1(VALU_DEP_2)
	v_sub_co_u32 v7, vcc_lo, v5, v7
	v_add3_u32 v8, v8, v11, v10
	s_delay_alu instid0(VALU_DEP_1) | instskip(NEXT) | instid1(VALU_DEP_1)
	v_sub_nc_u32_e32 v10, v6, v8
	v_subrev_co_ci_u32_e64 v10, s2, s19, v10, vcc_lo
	v_add_co_u32 v11, s2, v2, 2
	s_delay_alu instid0(VALU_DEP_1) | instskip(SKIP_3) | instid1(VALU_DEP_3)
	v_add_co_ci_u32_e64 v12, s2, 0, v9, s2
	v_sub_co_u32 v13, s2, v7, s18
	v_sub_co_ci_u32_e32 v8, vcc_lo, v6, v8, vcc_lo
	v_subrev_co_ci_u32_e64 v10, s2, 0, v10, s2
	v_cmp_le_u32_e32 vcc_lo, s18, v13
	s_delay_alu instid0(VALU_DEP_3) | instskip(SKIP_1) | instid1(VALU_DEP_4)
	v_cmp_eq_u32_e64 s2, s19, v8
	v_cndmask_b32_e64 v13, 0, -1, vcc_lo
	v_cmp_le_u32_e32 vcc_lo, s19, v10
	v_cndmask_b32_e64 v14, 0, -1, vcc_lo
	v_cmp_le_u32_e32 vcc_lo, s18, v7
	;; [unrolled: 2-line block ×3, first 2 shown]
	v_cndmask_b32_e64 v15, 0, -1, vcc_lo
	v_cmp_eq_u32_e32 vcc_lo, s19, v10
	s_delay_alu instid0(VALU_DEP_2) | instskip(SKIP_3) | instid1(VALU_DEP_3)
	v_cndmask_b32_e64 v7, v15, v7, s2
	v_cndmask_b32_e32 v10, v14, v13, vcc_lo
	v_add_co_u32 v13, vcc_lo, v2, 1
	v_add_co_ci_u32_e32 v14, vcc_lo, 0, v9, vcc_lo
	v_cmp_ne_u32_e32 vcc_lo, 0, v10
	s_delay_alu instid0(VALU_DEP_2) | instskip(NEXT) | instid1(VALU_DEP_4)
	v_cndmask_b32_e32 v8, v14, v12, vcc_lo
	v_cndmask_b32_e32 v10, v13, v11, vcc_lo
	v_cmp_ne_u32_e32 vcc_lo, 0, v7
	s_delay_alu instid0(VALU_DEP_2)
	v_dual_cndmask_b32 v7, v2, v10 :: v_dual_cndmask_b32 v8, v9, v8
.LBB0_4:                                ;   in Loop: Header=BB0_2 Depth=1
	s_and_not1_saveexec_b32 s2, s3
	s_cbranch_execz .LBB0_6
; %bb.5:                                ;   in Loop: Header=BB0_2 Depth=1
	v_cvt_f32_u32_e32 v2, s18
	s_sub_i32 s3, 0, s18
	s_delay_alu instid0(VALU_DEP_1) | instskip(SKIP_2) | instid1(VALU_DEP_1)
	v_rcp_iflag_f32_e32 v2, v2
	s_waitcnt_depctr 0xfff
	v_mul_f32_e32 v2, 0x4f7ffffe, v2
	v_cvt_u32_f32_e32 v2, v2
	s_delay_alu instid0(VALU_DEP_1) | instskip(NEXT) | instid1(VALU_DEP_1)
	v_mul_lo_u32 v7, s3, v2
	v_mul_hi_u32 v7, v2, v7
	s_delay_alu instid0(VALU_DEP_1) | instskip(NEXT) | instid1(VALU_DEP_1)
	v_add_nc_u32_e32 v2, v2, v7
	v_mul_hi_u32 v2, v5, v2
	s_delay_alu instid0(VALU_DEP_1) | instskip(SKIP_1) | instid1(VALU_DEP_2)
	v_mul_lo_u32 v7, v2, s18
	v_add_nc_u32_e32 v8, 1, v2
	v_sub_nc_u32_e32 v7, v5, v7
	s_delay_alu instid0(VALU_DEP_1) | instskip(SKIP_1) | instid1(VALU_DEP_2)
	v_subrev_nc_u32_e32 v9, s18, v7
	v_cmp_le_u32_e32 vcc_lo, s18, v7
	v_dual_cndmask_b32 v7, v7, v9 :: v_dual_cndmask_b32 v2, v2, v8
	s_delay_alu instid0(VALU_DEP_1) | instskip(NEXT) | instid1(VALU_DEP_2)
	v_cmp_le_u32_e32 vcc_lo, s18, v7
	v_add_nc_u32_e32 v8, 1, v2
	s_delay_alu instid0(VALU_DEP_1)
	v_dual_cndmask_b32 v7, v2, v8 :: v_dual_mov_b32 v8, v1
.LBB0_6:                                ;   in Loop: Header=BB0_2 Depth=1
	s_or_b32 exec_lo, exec_lo, s2
	s_load_b64 s[2:3], s[12:13], 0x0
	s_delay_alu instid0(VALU_DEP_1) | instskip(NEXT) | instid1(VALU_DEP_2)
	v_mul_lo_u32 v2, v8, s18
	v_mul_lo_u32 v11, v7, s19
	v_mad_u64_u32 v[9:10], null, v7, s18, 0
	s_add_u32 s16, s16, 1
	s_addc_u32 s17, s17, 0
	s_add_u32 s12, s12, 8
	s_addc_u32 s13, s13, 0
	;; [unrolled: 2-line block ×3, first 2 shown]
	s_delay_alu instid0(VALU_DEP_1) | instskip(SKIP_1) | instid1(VALU_DEP_2)
	v_add3_u32 v2, v10, v11, v2
	v_sub_co_u32 v9, vcc_lo, v5, v9
	v_sub_co_ci_u32_e32 v2, vcc_lo, v6, v2, vcc_lo
	s_waitcnt lgkmcnt(0)
	s_delay_alu instid0(VALU_DEP_2) | instskip(NEXT) | instid1(VALU_DEP_2)
	v_mul_lo_u32 v10, s3, v9
	v_mul_lo_u32 v2, s2, v2
	v_mad_u64_u32 v[5:6], null, s2, v9, v[3:4]
	v_cmp_ge_u64_e64 s2, s[16:17], s[6:7]
	s_delay_alu instid0(VALU_DEP_1) | instskip(NEXT) | instid1(VALU_DEP_2)
	s_and_b32 vcc_lo, exec_lo, s2
	v_add3_u32 v4, v10, v6, v2
	s_delay_alu instid0(VALU_DEP_3)
	v_mov_b32_e32 v3, v5
	s_cbranch_vccnz .LBB0_9
; %bb.7:                                ;   in Loop: Header=BB0_2 Depth=1
	v_dual_mov_b32 v5, v7 :: v_dual_mov_b32 v6, v8
	s_branch .LBB0_2
.LBB0_8:
	v_dual_mov_b32 v8, v6 :: v_dual_mov_b32 v7, v5
.LBB0_9:
	s_lshl_b64 s[2:3], s[6:7], 3
	v_mul_hi_u32 v1, 0x2d82d83, v0
	s_add_u32 s2, s10, s2
	s_addc_u32 s3, s11, s3
	s_load_b64 s[0:1], s[0:1], 0x20
	s_load_b64 s[2:3], s[2:3], 0x0
	s_delay_alu instid0(VALU_DEP_1) | instskip(NEXT) | instid1(VALU_DEP_1)
	v_mul_u32_u24_e32 v1, 0x5a, v1
	v_sub_nc_u32_e32 v56, v0, v1
	s_delay_alu instid0(VALU_DEP_1)
	v_add_nc_u32_e32 v58, 0x5a, v56
	v_add_nc_u32_e32 v69, 0xb4, v56
	;; [unrolled: 1-line block ×5, first 2 shown]
	s_waitcnt lgkmcnt(0)
	v_cmp_gt_u64_e32 vcc_lo, s[0:1], v[7:8]
	v_mul_lo_u32 v2, s2, v8
	v_mul_lo_u32 v5, s3, v7
	v_mad_u64_u32 v[0:1], null, s2, v7, v[3:4]
	v_cmp_le_u64_e64 s0, s[0:1], v[7:8]
	v_add_nc_u32_e32 v65, 0x21c, v56
	v_add_nc_u32_e32 v64, 0x276, v56
	;; [unrolled: 1-line block ×4, first 2 shown]
	v_add3_u32 v1, v5, v1, v2
	s_and_saveexec_b32 s1, s0
	s_delay_alu instid0(SALU_CYCLE_1)
	s_xor_b32 s0, exec_lo, s1
; %bb.10:
	v_add_nc_u32_e32 v58, 0x5a, v56
	v_add_nc_u32_e32 v69, 0xb4, v56
	;; [unrolled: 1-line block ×9, first 2 shown]
; %bb.11:
	s_or_saveexec_b32 s1, s0
	v_lshlrev_b64 v[60:61], 3, v[0:1]
	s_xor_b32 exec_lo, exec_lo, s1
	s_cbranch_execz .LBB0_13
; %bb.12:
	v_mov_b32_e32 v57, 0
	s_delay_alu instid0(VALU_DEP_2) | instskip(NEXT) | instid1(VALU_DEP_1)
	v_add_co_u32 v2, s0, s8, v60
	v_add_co_ci_u32_e64 v3, s0, s9, v61, s0
	s_delay_alu instid0(VALU_DEP_3) | instskip(SKIP_1) | instid1(VALU_DEP_1)
	v_lshlrev_b64 v[0:1], 3, v[56:57]
	v_lshl_add_u32 v57, v56, 3, 0
	v_add_nc_u32_e32 v59, 0x400, v57
	s_delay_alu instid0(VALU_DEP_3) | instskip(NEXT) | instid1(VALU_DEP_1)
	v_add_co_u32 v0, s0, v2, v0
	v_add_co_ci_u32_e64 v1, s0, v3, v1, s0
	v_add_nc_u32_e32 v74, 0x800, v57
	s_delay_alu instid0(VALU_DEP_3) | instskip(NEXT) | instid1(VALU_DEP_1)
	v_add_co_u32 v2, s0, 0x1000, v0
	v_add_co_ci_u32_e64 v3, s0, 0, v1, s0
	v_add_co_u32 v20, s0, 0x2000, v0
	s_delay_alu instid0(VALU_DEP_1) | instskip(SKIP_1) | instid1(VALU_DEP_1)
	v_add_co_ci_u32_e64 v21, s0, 0, v1, s0
	v_add_co_u32 v36, s0, 0x3000, v0
	v_add_co_ci_u32_e64 v37, s0, 0, v1, s0
	v_add_co_u32 v38, s0, 0x4000, v0
	s_delay_alu instid0(VALU_DEP_1)
	v_add_co_ci_u32_e64 v39, s0, 0, v1, s0
	s_clause 0x7
	global_load_b64 v[4:5], v[0:1], off
	global_load_b64 v[6:7], v[0:1], off offset:720
	global_load_b64 v[8:9], v[0:1], off offset:1440
	;; [unrolled: 1-line block ×7, first 2 shown]
	v_add_co_u32 v0, s0, 0x5000, v0
	s_delay_alu instid0(VALU_DEP_1)
	v_add_co_ci_u32_e64 v1, s0, 0, v1, s0
	s_clause 0x15
	global_load_b64 v[22:23], v[2:3], off offset:1664
	global_load_b64 v[24:25], v[2:3], off offset:2384
	;; [unrolled: 1-line block ×22, first 2 shown]
	v_add_nc_u32_e32 v75, 0x1000, v57
	v_add_nc_u32_e32 v76, 0x1400, v57
	;; [unrolled: 1-line block ×12, first 2 shown]
	s_waitcnt vmcnt(28)
	ds_store_2addr_b64 v57, v[4:5], v[6:7] offset1:90
	s_waitcnt vmcnt(26)
	ds_store_2addr_b64 v59, v[8:9], v[10:11] offset0:52 offset1:142
	s_waitcnt vmcnt(24)
	ds_store_2addr_b64 v74, v[12:13], v[14:15] offset0:104 offset1:194
	;; [unrolled: 2-line block ×14, first 2 shown]
.LBB0_13:
	s_or_b32 exec_lo, exec_lo, s1
	v_lshlrev_b32_e32 v57, 3, v56
	s_waitcnt lgkmcnt(0)
	s_barrier
	buffer_gl0_inv
	s_add_u32 s1, s4, 0x5448
	v_add_nc_u32_e32 v84, 0, v57
	s_addc_u32 s2, s5, 0
	s_mov_b32 s3, exec_lo
	s_delay_alu instid0(VALU_DEP_1)
	v_add_nc_u32_e32 v102, 0x1800, v84
	v_add_nc_u32_e32 v59, 0x3800, v84
	ds_load_2addr_b64 v[12:15], v84 offset1:90
	ds_load_2addr_b64 v[16:19], v102 offset0:132 offset1:222
	ds_load_2addr_b64 v[20:23], v59 offset0:8 offset1:98
	s_waitcnt lgkmcnt(0)
	v_dual_add_f32 v40, v12, v16 :: v_dual_sub_f32 v75, v18, v22
	v_sub_f32_e32 v71, v16, v20
	v_dual_add_f32 v41, v13, v17 :: v_dual_add_nc_u32 v0, 0x400, v84
	v_dual_sub_f32 v73, v19, v23 :: v_dual_add_nc_u32 v88, 0x2000, v84
	v_dual_add_f32 v72, v18, v22 :: v_dual_add_nc_u32 v89, 0x3c00, v84
	ds_load_2addr_b64 v[8:11], v0 offset0:52 offset1:142
	ds_load_2addr_b64 v[24:27], v88 offset0:56 offset1:146
	v_add_f32_e32 v54, v16, v20
	v_add_f32_e32 v16, v14, v18
	v_add_nc_u32_e32 v76, 0x800, v84
	v_dual_add_f32 v45, v41, v21 :: v_dual_add_nc_u32 v92, 0x2400, v84
	s_delay_alu instid0(VALU_DEP_3)
	v_dual_add_f32 v46, v16, v22 :: v_dual_add_nc_u32 v93, 0x4000, v84
	v_dual_add_f32 v74, v19, v23 :: v_dual_add_nc_u32 v77, 0x1000, v84
	v_sub_f32_e32 v55, v17, v21
	v_dual_add_f32 v70, v17, v21 :: v_dual_add_f32 v17, v15, v19
	ds_load_2addr_b64 v[28:31], v89 offset0:60 offset1:150
	ds_load_2addr_b64 v[4:7], v76 offset0:104 offset1:194
	;; [unrolled: 1-line block ×5, first 2 shown]
	v_add_nc_u32_e32 v90, 0x2800, v84
	v_add_nc_u32_e32 v91, 0x4800, v84
	v_dual_add_f32 v44, v40, v20 :: v_dual_add_f32 v47, v17, v23
	v_fma_f32 v13, -0.5, v70, v13
	v_fma_f32 v14, -0.5, v72, v14
	s_waitcnt lgkmcnt(5)
	v_dual_add_f32 v42, v8, v24 :: v_dual_add_f32 v17, v10, v26
	v_dual_add_f32 v16, v9, v25 :: v_dual_add_nc_u32 v95, 0x4c00, v84
	s_waitcnt lgkmcnt(4)
	v_dual_fmac_f32 v15, -0.5, v74 :: v_dual_add_f32 v78, v24, v28
	v_add_f32_e32 v85, v27, v31
	v_sub_f32_e32 v79, v25, v29
	v_dual_add_f32 v80, v25, v29 :: v_dual_sub_f32 v81, v24, v28
	s_waitcnt lgkmcnt(2)
	v_dual_add_f32 v24, v11, v27 :: v_dual_add_f32 v25, v4, v32
	v_add_f32_e32 v50, v17, v30
	v_dual_add_f32 v48, v42, v28 :: v_dual_add_f32 v49, v16, v29
	s_delay_alu instid0(VALU_DEP_3)
	v_dual_add_f32 v51, v24, v31 :: v_dual_add_f32 v24, v5, v33
	s_waitcnt lgkmcnt(1)
	v_dual_add_f32 v52, v25, v36 :: v_dual_add_f32 v97, v34, v38
	v_add_f32_e32 v25, v6, v34
	v_dual_add_f32 v82, v26, v30 :: v_dual_add_f32 v87, v32, v36
	ds_load_2addr_b64 v[16:19], v90 offset0:160 offset1:250
	ds_load_2addr_b64 v[20:23], v91 offset0:36 offset1:126
	v_dual_sub_f32 v86, v26, v30 :: v_dual_add_f32 v53, v24, v37
	v_sub_f32_e32 v96, v33, v37
	v_dual_add_f32 v37, v33, v37 :: v_dual_add_f32 v24, v7, v35
	v_sub_f32_e32 v36, v32, v36
	v_dual_add_f32 v32, v25, v38 :: v_dual_add_nc_u32 v25, 0x1400, v84
	s_delay_alu instid0(VALU_DEP_3)
	v_dual_add_f32 v33, v24, v39 :: v_dual_add_nc_u32 v94, 0x3000, v84
	v_sub_f32_e32 v83, v27, v31
	ds_load_2addr_b64 v[24:27], v25 offset0:80 offset1:170
	ds_load_2addr_b64 v[28:31], v94 offset0:84 offset1:174
	;; [unrolled: 1-line block ×3, first 2 shown]
	v_sub_f32_e32 v34, v34, v38
	v_sub_f32_e32 v98, v35, v39
	v_add_f32_e32 v35, v35, v39
	v_fma_f32 v12, -0.5, v54, v12
	v_fma_f32 v8, -0.5, v78, v8
	s_waitcnt lgkmcnt(3)
	v_dual_add_f32 v38, v0, v16 :: v_dual_add_f32 v101, v17, v21
	v_dual_add_f32 v100, v1, v17 :: v_dual_sub_f32 v103, v16, v20
	v_dual_add_f32 v104, v2, v18 :: v_dual_add_f32 v107, v3, v19
	v_add_f32_e32 v39, v16, v20
	s_delay_alu instid0(VALU_DEP_4) | instskip(NEXT) | instid1(VALU_DEP_4)
	v_dual_add_f32 v16, v38, v20 :: v_dual_sub_f32 v99, v17, v21
	v_add_f32_e32 v17, v100, v21
	v_dual_add_f32 v105, v18, v22 :: v_dual_sub_f32 v106, v19, v23
	v_dual_add_f32 v108, v19, v23 :: v_dual_sub_f32 v109, v18, v22
	s_waitcnt lgkmcnt(1)
	v_dual_add_f32 v20, v24, v28 :: v_dual_add_f32 v21, v25, v29
	v_dual_add_f32 v18, v104, v22 :: v_dual_add_f32 v19, v107, v23
	v_add_f32_e32 v22, v26, v30
	s_waitcnt lgkmcnt(0)
	v_dual_add_f32 v38, v28, v40 :: v_dual_sub_f32 v111, v31, v43
	v_dual_sub_f32 v100, v29, v41 :: v_dual_sub_f32 v107, v28, v40
	v_dual_add_f32 v104, v29, v41 :: v_dual_add_f32 v23, v27, v31
	v_dual_add_f32 v20, v20, v40 :: v_dual_fmamk_f32 v29, v71, 0xbf5db3d7, v13
	v_fmamk_f32 v28, v55, 0x3f5db3d7, v12
	v_mad_u32_u24 v40, v56, 24, 0
	v_fma_f32 v9, -0.5, v80, v9
	v_dual_add_f32 v21, v21, v41 :: v_dual_add_f32 v22, v22, v42
	v_fmac_f32_e32 v13, 0x3f5db3d7, v71
	v_fmac_f32_e32 v12, 0xbf5db3d7, v55
	v_dual_add_f32 v110, v30, v42 :: v_dual_add_f32 v23, v23, v43
	v_dual_add_f32 v112, v31, v43 :: v_dual_sub_f32 v113, v30, v42
	s_barrier
	buffer_gl0_inv
	v_fmamk_f32 v30, v73, 0x3f5db3d7, v14
	v_fmamk_f32 v31, v75, 0xbf5db3d7, v15
	v_fmac_f32_e32 v15, 0x3f5db3d7, v75
	v_mad_i32_i24 v41, v58, 24, 0
	v_fmac_f32_e32 v14, 0xbf5db3d7, v73
	ds_store_2addr_b64 v40, v[44:45], v[28:29] offset1:1
	ds_store_b64 v40, v[12:13] offset:16
	v_fmamk_f32 v13, v81, 0xbf5db3d7, v9
	v_fma_f32 v10, -0.5, v82, v10
	v_dual_fmamk_f32 v12, v79, 0x3f5db3d7, v8 :: v_dual_fmac_f32 v9, 0x3f5db3d7, v81
	v_dual_fmac_f32 v8, 0xbf5db3d7, v79 :: v_dual_fmac_f32 v11, -0.5, v85
	v_fma_f32 v4, -0.5, v87, v4
	v_fma_f32 v5, -0.5, v37, v5
	v_mad_i32_i24 v42, v69, 24, 0
	v_and_b32_e32 v79, 0xff, v58
	ds_store_2addr_b64 v41, v[46:47], v[30:31] offset1:1
	ds_store_b64 v41, v[14:15] offset:16
	v_fmamk_f32 v14, v83, 0x3f5db3d7, v10
	v_dual_fmac_f32 v10, 0xbf5db3d7, v83 :: v_dual_fmamk_f32 v15, v86, 0xbf5db3d7, v11
	v_fma_f32 v6, -0.5, v97, v6
	v_fmamk_f32 v28, v96, 0x3f5db3d7, v4
	v_dual_fmac_f32 v4, 0xbf5db3d7, v96 :: v_dual_fmamk_f32 v29, v36, 0xbf5db3d7, v5
	s_delay_alu instid0(VALU_DEP_3)
	v_dual_fmac_f32 v7, -0.5, v35 :: v_dual_fmamk_f32 v30, v98, 0x3f5db3d7, v6
	v_fma_f32 v0, -0.5, v39, v0
	v_fma_f32 v1, -0.5, v101, v1
	v_mad_i32_i24 v43, v68, 24, 0
	ds_store_2addr_b64 v42, v[48:49], v[12:13] offset1:1
	ds_store_b64 v42, v[8:9] offset:16
	v_mad_i32_i24 v8, v67, 24, 0
	v_and_b32_e32 v78, 0xffff, v69
	v_mul_lo_u16 v9, 0xab, v79
	v_fmac_f32_e32 v11, 0x3f5db3d7, v86
	v_fmac_f32_e32 v5, 0x3f5db3d7, v36
	v_dual_fmac_f32 v6, 0xbf5db3d7, v98 :: v_dual_fmamk_f32 v31, v34, 0xbf5db3d7, v7
	v_dual_fmac_f32 v7, 0x3f5db3d7, v34 :: v_dual_fmamk_f32 v34, v99, 0x3f5db3d7, v0
	v_fma_f32 v2, -0.5, v105, v2
	v_dual_fmac_f32 v0, 0xbf5db3d7, v99 :: v_dual_fmamk_f32 v35, v103, 0xbf5db3d7, v1
	v_fmac_f32_e32 v1, 0x3f5db3d7, v103
	ds_store_2addr_b64 v43, v[50:51], v[14:15] offset1:1
	ds_store_b64 v43, v[10:11] offset:16
	v_fmamk_f32 v36, v106, 0x3f5db3d7, v2
	ds_store_2addr_b64 v8, v[52:53], v[28:29] offset1:1
	ds_store_b64 v8, v[4:5] offset:16
	v_mul_u32_u24_e32 v4, 0xaaab, v78
	v_lshrrev_b16 v103, 9, v9
	v_mad_i32_i24 v10, v66, 24, 0
	v_mad_i32_i24 v86, v65, 24, 0
	ds_store_2addr_b64 v10, v[32:33], v[30:31] offset1:1
	ds_store_b64 v10, v[6:7] offset:16
	v_lshrrev_b32_e32 v80, 17, v4
	v_mul_lo_u16 v4, v103, 3
	ds_store_2addr_b64 v86, v[16:17], v[34:35] offset1:1
	ds_store_b64 v86, v[0:1] offset:16
	v_and_b32_e32 v81, 0xff, v56
	v_fma_f32 v25, -0.5, v104, v25
	v_mul_lo_u16 v0, v80, 3
	v_sub_nc_u16 v1, v58, v4
	v_dual_fmac_f32 v3, -0.5, v108 :: v_dual_fmac_f32 v2, 0xbf5db3d7, v106
	v_fma_f32 v26, -0.5, v110, v26
	s_delay_alu instid0(VALU_DEP_4) | instskip(NEXT) | instid1(VALU_DEP_4)
	v_sub_nc_u16 v0, v69, v0
	v_and_b32_e32 v82, 0xff, v1
	v_mul_lo_u16 v1, 0xab, v81
	v_fmamk_f32 v39, v107, 0xbf5db3d7, v25
	v_fma_f32 v24, -0.5, v38, v24
	v_and_b32_e32 v83, 0xffff, v0
	v_mul_u32_u24_e32 v0, 9, v82
	v_lshrrev_b16 v104, 9, v1
	v_fmac_f32_e32 v25, 0x3f5db3d7, v107
	v_fmamk_f32 v37, v109, 0xbf5db3d7, v3
	v_mad_i32_i24 v5, v64, 24, 0
	v_lshlrev_b32_e32 v48, 3, v0
	v_mul_lo_u16 v1, v104, 3
	v_dual_fmac_f32 v3, 0x3f5db3d7, v109 :: v_dual_fmamk_f32 v38, v100, 0x3f5db3d7, v24
	v_dual_fmac_f32 v27, -0.5, v112 :: v_dual_fmamk_f32 v40, v111, 0x3f5db3d7, v26
	s_delay_alu instid0(VALU_DEP_3)
	v_sub_nc_u16 v0, v56, v1
	v_fmac_f32_e32 v24, 0xbf5db3d7, v100
	ds_store_2addr_b64 v5, v[18:19], v[36:37] offset1:1
	ds_store_b64 v5, v[2:3] offset:16
	v_mad_i32_i24 v2, v63, 24, 0
	v_mad_i32_i24 v85, v62, 24, 0
	v_and_b32_e32 v105, 0xff, v0
	v_fmac_f32_e32 v26, 0xbf5db3d7, v111
	v_lshl_add_u32 v87, v68, 3, 0
	v_lshl_add_u32 v101, v58, 3, 0
	;; [unrolled: 1-line block ×3, first 2 shown]
	v_mul_u32_u24_e32 v0, 9, v105
	v_fmamk_f32 v41, v113, 0xbf5db3d7, v27
	s_delay_alu instid0(VALU_DEP_2)
	v_dual_fmac_f32 v27, 0x3f5db3d7, v113 :: v_dual_lshlrev_b32 v50, 3, v0
	ds_store_2addr_b64 v2, v[20:21], v[38:39] offset1:1
	ds_store_b64 v2, v[24:25] offset:16
	ds_store_2addr_b64 v85, v[22:23], v[40:41] offset1:1
	ds_store_b64 v85, v[26:27] offset:16
	s_waitcnt lgkmcnt(0)
	s_barrier
	buffer_gl0_inv
	global_load_b128 v[20:23], v48, s[4:5]
	v_mul_u32_u24_e32 v2, 9, v83
	s_delay_alu instid0(VALU_DEP_1)
	v_lshlrev_b32_e32 v49, 3, v2
	s_clause 0xd
	global_load_b128 v[16:19], v49, s[4:5]
	global_load_b128 v[12:15], v50, s[4:5]
	global_load_b128 v[8:11], v50, s[4:5] offset:16
	global_load_b128 v[4:7], v48, s[4:5] offset:16
	global_load_b128 v[0:3], v49, s[4:5] offset:16
	global_load_b128 v[28:31], v50, s[4:5] offset:32
	global_load_b128 v[36:39], v48, s[4:5] offset:32
	global_load_b128 v[32:35], v49, s[4:5] offset:32
	global_load_b128 v[24:27], v50, s[4:5] offset:48
	global_load_b128 v[40:43], v48, s[4:5] offset:48
	global_load_b128 v[44:47], v49, s[4:5] offset:48
	global_load_b64 v[72:73], v50, s[4:5] offset:64
	global_load_b64 v[70:71], v48, s[4:5] offset:64
	global_load_b64 v[74:75], v49, s[4:5] offset:64
	ds_load_2addr_b64 v[52:55], v76 offset0:104 offset1:194
	ds_load_2addr_b64 v[48:51], v77 offset0:118 offset1:208
	v_lshlrev_b32_e32 v97, 4, v62
	s_delay_alu instid0(VALU_DEP_1) | instskip(SKIP_2) | instid1(VALU_DEP_1)
	v_sub_nc_u32_e32 v98, v85, v97
	s_waitcnt vmcnt(14) lgkmcnt(0)
	v_dual_mul_f32 v131, v48, v23 :: v_dual_lshlrev_b32 v96, 4, v65
	v_dual_mul_f32 v106, v52, v21 :: v_dual_fmac_f32 v131, v49, v22
	s_delay_alu instid0(VALU_DEP_2)
	v_sub_nc_u32_e32 v99, v86, v96
	ds_load_b64 v[127:128], v99
	ds_load_b64 v[129:130], v98
	ds_load_2addr_b64 v[107:110], v88 offset0:56 offset1:146
	ds_load_b64 v[123:124], v87
	ds_load_2addr_b64 v[111:114], v102 offset0:132 offset1:222
	ds_load_2addr_b64 v[115:118], v92 offset0:108 offset1:198
	s_waitcnt vmcnt(13)
	v_mul_f32_e32 v120, v55, v17
	v_dual_mul_f32 v17, v54, v17 :: v_dual_fmac_f32 v106, v53, v20
	s_waitcnt vmcnt(10) lgkmcnt(3)
	v_mul_f32_e32 v134, v109, v7
	v_mul_f32_e32 v119, v53, v21
	;; [unrolled: 1-line block ×4, first 2 shown]
	s_delay_alu instid0(VALU_DEP_4) | instskip(NEXT) | instid1(VALU_DEP_4)
	v_dual_fmac_f32 v17, v55, v16 :: v_dual_fmac_f32 v134, v110, v6
	v_fma_f32 v52, v52, v20, -v119
	s_delay_alu instid0(VALU_DEP_4)
	v_fma_f32 v132, v48, v22, -v21
	ds_load_b64 v[22:23], v101
	ds_load_b64 v[20:21], v100
	v_mul_f32_e32 v48, v50, v19
	v_fma_f32 v19, v54, v16, -v120
	ds_load_2addr_b64 v[119:122], v94 offset0:84 offset1:174
	s_waitcnt lgkmcnt(5)
	v_mul_f32_e32 v16, v13, v124
	v_mul_f32_e32 v55, v13, v123
	v_fma_f32 v13, v50, v18, -v49
	v_dual_fmac_f32 v48, v51, v18 :: v_dual_mul_f32 v51, v129, v9
	s_delay_alu instid0(VALU_DEP_4) | instskip(NEXT) | instid1(VALU_DEP_4)
	v_fma_f32 v50, v12, v123, -v16
	v_fmac_f32_e32 v55, v12, v124
	ds_load_2addr_b64 v[123:126], v90 offset0:160 offset1:250
	v_dual_mul_f32 v12, v130, v9 :: v_dual_mul_f32 v9, v108, v11
	v_mul_f32_e32 v133, v107, v11
	v_mul_f32_e32 v11, v110, v7
	s_waitcnt lgkmcnt(5)
	v_mul_f32_e32 v7, v112, v5
	v_dual_mul_f32 v137, v111, v5 :: v_dual_mul_f32 v18, v128, v15
	s_waitcnt vmcnt(8) lgkmcnt(4)
	v_dual_mul_f32 v49, v127, v15 :: v_dual_mul_f32 v140, v117, v29
	s_delay_alu instid0(VALU_DEP_3) | instskip(NEXT) | instid1(VALU_DEP_3)
	v_fma_f32 v139, v111, v4, -v7
	v_fmac_f32_e32 v137, v112, v4
	v_mul_f32_e32 v4, v116, v3
	v_mul_f32_e32 v7, v115, v3
	v_fma_f32 v18, v127, v14, -v18
	v_dual_fmac_f32 v49, v128, v14 :: v_dual_fmac_f32 v140, v118, v28
	v_fma_f32 v135, v129, v8, -v12
	v_fma_f32 v136, v107, v10, -v9
	;; [unrolled: 1-line block ×3, first 2 shown]
	v_fmac_f32_e32 v7, v116, v2
	s_waitcnt lgkmcnt(1)
	v_dual_mul_f32 v2, v120, v31 :: v_dual_fmac_f32 v51, v130, v8
	ds_load_2addr_b64 v[127:130], v59 offset0:8 offset1:98
	v_mul_f32_e32 v5, v114, v1
	v_mul_f32_e32 v1, v113, v1
	s_waitcnt vmcnt(6) lgkmcnt(1)
	v_dual_mul_f32 v115, v119, v31 :: v_dual_mul_f32 v4, v126, v33
	ds_load_b64 v[53:54], v84
	v_fma_f32 v3, v113, v0, -v5
	v_fmac_f32_e32 v1, v114, v0
	v_mul_f32_e32 v0, v118, v29
	ds_load_2addr_b64 v[111:114], v89 offset0:60 offset1:150
	v_fma_f32 v118, v119, v30, -v2
	v_fmac_f32_e32 v115, v120, v30
	v_mul_f32_e32 v2, v124, v37
	v_fma_f32 v116, v117, v28, -v0
	v_dual_mul_f32 v0, v122, v39 :: v_dual_fmac_f32 v133, v108, v10
	ds_load_2addr_b64 v[28:31], v91 offset0:36 offset1:126
	v_mul_f32_e32 v117, v121, v39
	v_fma_f32 v4, v125, v32, -v4
	v_fma_f32 v120, v121, v38, -v0
	v_mul_f32_e32 v0, v125, v33
	v_fma_f32 v138, v109, v6, -v11
	ds_load_2addr_b64 v[107:110], v93 offset0:112 offset1:202
	v_fma_f32 v121, v123, v36, -v2
	s_waitcnt lgkmcnt(4)
	v_mul_f32_e32 v2, v128, v35
	v_mul_f32_e32 v10, v127, v35
	v_fmac_f32_e32 v0, v126, v32
	s_waitcnt vmcnt(5)
	v_mul_f32_e32 v32, v129, v25
	v_fma_f32 v12, v127, v34, -v2
	s_waitcnt vmcnt(3) lgkmcnt(2)
	v_mul_f32_e32 v2, v113, v45
	v_dual_mul_f32 v119, v123, v37 :: v_dual_fmac_f32 v10, v128, v34
	v_mul_f32_e32 v14, v112, v41
	v_fmac_f32_e32 v32, v130, v24
	s_delay_alu instid0(VALU_DEP_4)
	v_fmac_f32_e32 v2, v114, v44
	s_waitcnt vmcnt(2) lgkmcnt(1)
	v_dual_mul_f32 v16, v31, v73 :: v_dual_fmac_f32 v117, v122, v38
	s_waitcnt lgkmcnt(0)
	v_mul_f32_e32 v6, v108, v27
	v_mul_f32_e32 v27, v107, v27
	;; [unrolled: 1-line block ×4, first 2 shown]
	s_delay_alu instid0(VALU_DEP_4)
	v_fma_f32 v34, v107, v26, -v6
	v_fmac_f32_e32 v119, v124, v36
	ds_load_2addr_b64 v[36:39], v95 offset0:88 offset1:178
	v_dual_fmac_f32 v27, v108, v26 :: v_dual_mul_f32 v26, v30, v73
	v_mul_f32_e32 v5, v130, v25
	v_fmac_f32_e32 v43, v110, v42
	v_sub_f32_e32 v110, v136, v118
	s_waitcnt vmcnt(0) lgkmcnt(0)
	v_fmac_f32_e32 v26, v31, v72
	v_fma_f32 v33, v129, v24, -v5
	v_mul_f32_e32 v5, v114, v45
	v_mul_f32_e32 v15, v29, v47
	v_dual_mul_f32 v41, v111, v41 :: v_dual_add_f32 v114, v18, v34
	s_barrier
	buffer_gl0_inv
	v_mul_f32_e32 v24, v37, v71
	v_mul_f32_e32 v45, v36, v71
	v_dual_add_f32 v31, v116, v33 :: v_dual_sub_f32 v108, v133, v115
	v_and_b32_e32 v71, 0xffff, v104
	s_delay_alu instid0(VALU_DEP_3) | instskip(NEXT) | instid1(VALU_DEP_3)
	v_fmac_f32_e32 v45, v37, v70
	v_fma_f32 v37, -0.5, v31, v50
	v_sub_f32_e32 v31, v51, v26
	v_mul_f32_e32 v11, v28, v47
	v_fma_f32 v47, v109, v42, -v8
	v_mul_f32_e32 v8, v39, v75
	v_fma_f32 v42, v111, v40, -v14
	v_fma_f32 v14, v28, v46, -v15
	;; [unrolled: 1-line block ×3, first 2 shown]
	v_sub_f32_e32 v15, v18, v136
	v_sub_f32_e32 v16, v34, v118
	v_fma_f32 v8, v38, v74, -v8
	v_sub_f32_e32 v30, v135, v116
	s_delay_alu instid0(VALU_DEP_3)
	v_add_f32_e32 v35, v15, v16
	v_sub_f32_e32 v16, v51, v140
	v_fma_f32 v6, v113, v44, -v5
	v_mul_f32_e32 v5, v38, v75
	v_dual_sub_f32 v38, v26, v32 :: v_dual_sub_f32 v15, v28, v33
	v_sub_f32_e32 v44, v116, v33
	s_delay_alu instid0(VALU_DEP_2) | instskip(SKIP_1) | instid1(VALU_DEP_4)
	v_add_f32_e32 v38, v16, v38
	v_mul_u32_u24_e32 v16, 0xf0, v71
	v_dual_add_f32 v30, v30, v15 :: v_dual_lshlrev_b32 v71, 3, v105
	v_fmac_f32_e32 v41, v112, v40
	v_fma_f32 v40, v36, v70, -v24
	v_dual_sub_f32 v24, v49, v133 :: v_dual_sub_f32 v25, v27, v115
	s_delay_alu instid0(VALU_DEP_4)
	v_add3_u32 v71, 0, v16, v71
	v_add_f32_e32 v16, v136, v118
	v_fmac_f32_e32 v11, v29, v46
	v_add_f32_e32 v29, v140, v32
	v_fmac_f32_e32 v5, v39, v74
	v_fmamk_f32 v46, v31, 0x3f737871, v37
	v_dual_sub_f32 v70, v140, v32 :: v_dual_sub_f32 v75, v49, v27
	s_delay_alu instid0(VALU_DEP_4) | instskip(SKIP_1) | instid1(VALU_DEP_3)
	v_fma_f32 v36, -0.5, v29, v55
	v_dual_sub_f32 v29, v135, v28 :: v_dual_add_f32 v72, v24, v25
	v_fmac_f32_e32 v46, 0x3f167918, v70
	v_add_f32_e32 v24, v54, v49
	v_sub_f32_e32 v105, v18, v34
	s_delay_alu instid0(VALU_DEP_4) | instskip(SKIP_2) | instid1(VALU_DEP_3)
	v_fmamk_f32 v39, v29, 0xbf737871, v36
	v_fmac_f32_e32 v36, 0x3f737871, v29
	v_dual_fmac_f32 v46, 0x3e9e377a, v30 :: v_dual_add_f32 v25, v55, v51
	v_fmac_f32_e32 v39, 0xbf167918, v44
	s_delay_alu instid0(VALU_DEP_3) | instskip(NEXT) | instid1(VALU_DEP_3)
	v_fmac_f32_e32 v36, 0x3f167918, v44
	v_mul_f32_e32 v74, 0xbf167918, v46
	s_delay_alu instid0(VALU_DEP_3) | instskip(NEXT) | instid1(VALU_DEP_3)
	v_fmac_f32_e32 v39, 0x3e9e377a, v38
	v_fmac_f32_e32 v36, 0x3e9e377a, v38
	s_delay_alu instid0(VALU_DEP_2) | instskip(NEXT) | instid1(VALU_DEP_1)
	v_mul_f32_e32 v73, 0x3f167918, v39
	v_dual_fmac_f32 v74, 0x3f4f1bbd, v39 :: v_dual_fmac_f32 v73, 0x3f4f1bbd, v46
	v_fma_f32 v46, -0.5, v16, v53
	v_add_f32_e32 v16, v24, v133
	s_delay_alu instid0(VALU_DEP_2) | instskip(NEXT) | instid1(VALU_DEP_2)
	v_dual_add_f32 v24, v50, v135 :: v_dual_fmamk_f32 v107, v75, 0x3f737871, v46
	v_add_f32_e32 v16, v16, v115
	v_fmac_f32_e32 v37, 0xbf737871, v31
	s_delay_alu instid0(VALU_DEP_3) | instskip(NEXT) | instid1(VALU_DEP_3)
	v_fmac_f32_e32 v107, 0x3f167918, v108
	v_add_f32_e32 v111, v16, v27
	s_delay_alu instid0(VALU_DEP_2) | instskip(SKIP_2) | instid1(VALU_DEP_2)
	v_fmac_f32_e32 v107, 0x3e9e377a, v35
	v_add_f32_e32 v15, v53, v18
	v_fma_f32 v53, -0.5, v114, v53
	v_dual_sub_f32 v18, v136, v18 :: v_dual_add_f32 v15, v15, v136
	s_delay_alu instid0(VALU_DEP_2) | instskip(SKIP_1) | instid1(VALU_DEP_2)
	v_fmamk_f32 v114, v108, 0xbf737871, v53
	v_fmac_f32_e32 v53, 0x3f737871, v108
	v_dual_add_f32 v15, v15, v118 :: v_dual_fmac_f32 v114, 0x3f167918, v75
	s_delay_alu instid0(VALU_DEP_1) | instskip(SKIP_1) | instid1(VALU_DEP_1)
	v_add_f32_e32 v39, v15, v34
	v_sub_f32_e32 v34, v118, v34
	v_add_f32_e32 v18, v18, v34
	v_sub_f32_e32 v34, v133, v49
	v_add_f32_e32 v49, v49, v27
	v_add_f32_e32 v15, v133, v115
	s_delay_alu instid0(VALU_DEP_4) | instskip(SKIP_2) | instid1(VALU_DEP_4)
	v_dual_sub_f32 v27, v115, v27 :: v_dual_fmac_f32 v114, 0x3e9e377a, v18
	v_fmac_f32_e32 v53, 0xbf167918, v75
	v_add_f32_e32 v115, v135, v28
	v_fma_f32 v104, -0.5, v15, v54
	v_dual_add_f32 v15, v24, v116 :: v_dual_fmac_f32 v54, -0.5, v49
	s_delay_alu instid0(VALU_DEP_4) | instskip(SKIP_1) | instid1(VALU_DEP_3)
	v_dual_fmac_f32 v53, 0x3e9e377a, v18 :: v_dual_add_f32 v18, v34, v27
	v_add_f32_e32 v34, v51, v26
	v_add_f32_e32 v15, v15, v33
	s_delay_alu instid0(VALU_DEP_4) | instskip(SKIP_1) | instid1(VALU_DEP_3)
	v_fmamk_f32 v49, v110, 0x3f737871, v54
	v_dual_fmac_f32 v54, 0xbf737871, v110 :: v_dual_sub_f32 v27, v116, v135
	v_dual_fmac_f32 v55, -0.5, v34 :: v_dual_add_f32 v112, v15, v28
	v_sub_f32_e32 v28, v33, v28
	v_add_f32_e32 v24, v25, v140
	v_fmac_f32_e32 v50, -0.5, v115
	v_fmamk_f32 v109, v105, 0xbf737871, v104
	v_add_f32_e32 v15, v39, v112
	v_dual_add_f32 v27, v27, v28 :: v_dual_fmac_f32 v46, 0xbf737871, v75
	v_add_f32_e32 v24, v24, v32
	v_dual_sub_f32 v28, v140, v51 :: v_dual_fmamk_f32 v33, v70, 0xbf737871, v50
	v_fmac_f32_e32 v50, 0x3f737871, v70
	s_delay_alu instid0(VALU_DEP_4) | instskip(NEXT) | instid1(VALU_DEP_4)
	v_dual_fmac_f32 v37, 0xbf167918, v70 :: v_dual_fmac_f32 v46, 0xbf167918, v108
	v_add_f32_e32 v113, v24, v26
	v_sub_f32_e32 v26, v32, v26
	s_delay_alu instid0(VALU_DEP_4)
	v_fmac_f32_e32 v50, 0xbf167918, v31
	v_fmamk_f32 v32, v44, 0x3f737871, v55
	v_fmac_f32_e32 v109, 0xbf167918, v110
	v_fmac_f32_e32 v37, 0x3e9e377a, v30
	v_dual_add_f32 v26, v28, v26 :: v_dual_fmac_f32 v49, 0xbf167918, v105
	v_sub_f32_e32 v30, v39, v112
	v_fmac_f32_e32 v32, 0xbf167918, v29
	v_dual_fmac_f32 v109, 0x3e9e377a, v72 :: v_dual_fmac_f32 v46, 0x3e9e377a, v35
	s_delay_alu instid0(VALU_DEP_4) | instskip(SKIP_1) | instid1(VALU_DEP_4)
	v_fmac_f32_e32 v49, 0x3e9e377a, v18
	v_fmac_f32_e32 v54, 0x3f167918, v105
	;; [unrolled: 1-line block ×5, first 2 shown]
	v_dual_add_f32 v25, v109, v74 :: v_dual_fmac_f32 v50, 0x3e9e377a, v27
	s_delay_alu instid0(VALU_DEP_4) | instskip(NEXT) | instid1(VALU_DEP_4)
	v_mul_f32_e32 v34, 0x3f737871, v32
	v_fmac_f32_e32 v104, 0x3f167918, v110
	s_delay_alu instid0(VALU_DEP_4) | instskip(SKIP_2) | instid1(VALU_DEP_4)
	v_dual_fmac_f32 v33, 0x3e9e377a, v27 :: v_dual_fmac_f32 v54, 0x3e9e377a, v18
	v_add_f32_e32 v16, v111, v113
	v_add_f32_e32 v24, v107, v73
	v_fmac_f32_e32 v104, 0x3e9e377a, v72
	s_delay_alu instid0(VALU_DEP_4) | instskip(SKIP_3) | instid1(VALU_DEP_4)
	v_mul_f32_e32 v51, 0xbf737871, v33
	v_fmac_f32_e32 v34, 0x3e9e377a, v33
	v_fmac_f32_e32 v55, 0xbf737871, v44
	v_mul_f32_e32 v33, 0x3f4f1bbd, v36
	v_fmac_f32_e32 v51, 0x3e9e377a, v32
	v_mul_f32_e32 v32, 0x3f4f1bbd, v37
	s_delay_alu instid0(VALU_DEP_3) | instskip(SKIP_1) | instid1(VALU_DEP_3)
	v_fma_f32 v39, 0xbf167918, v37, -v33
	v_sub_f32_e32 v33, v109, v74
	v_fma_f32 v38, 0x3f167918, v36, -v32
	v_fmac_f32_e32 v55, 0x3f167918, v29
	v_sub_f32_e32 v32, v107, v73
	s_delay_alu instid0(VALU_DEP_3) | instskip(NEXT) | instid1(VALU_DEP_3)
	v_add_f32_e32 v36, v46, v38
	v_fmac_f32_e32 v55, 0x3e9e377a, v26
	s_delay_alu instid0(VALU_DEP_1) | instskip(NEXT) | instid1(VALU_DEP_1)
	v_dual_mul_f32 v26, 0x3e9e377a, v50 :: v_dual_mul_f32 v27, 0x3e9e377a, v55
	v_fma_f32 v18, 0x3f737871, v55, -v26
	v_add_f32_e32 v26, v114, v34
	v_sub_f32_e32 v34, v114, v34
	s_delay_alu instid0(VALU_DEP_4) | instskip(SKIP_2) | instid1(VALU_DEP_3)
	v_fma_f32 v50, 0xbf737871, v50, -v27
	v_add_f32_e32 v27, v49, v51
	v_add_f32_e32 v28, v53, v18
	;; [unrolled: 1-line block ×3, first 2 shown]
	ds_store_2addr_b64 v71, v[15:16], v[24:25] offset1:3
	ds_store_2addr_b64 v71, v[26:27], v[28:29] offset0:6 offset1:9
	v_add_f32_e32 v24, v138, v120
	v_sub_f32_e32 v16, v54, v50
	v_dual_sub_f32 v15, v53, v18 :: v_dual_sub_f32 v26, v131, v43
	v_sub_f32_e32 v25, v104, v39
	s_delay_alu instid0(VALU_DEP_4)
	v_fma_f32 v18, -0.5, v24, v22
	v_sub_f32_e32 v31, v111, v113
	v_dual_add_f32 v37, v104, v39 :: v_dual_sub_f32 v24, v46, v38
	v_sub_f32_e32 v35, v49, v51
	ds_store_2addr_b64 v71, v[36:37], v[30:31] offset0:12 offset1:15
	ds_store_2addr_b64 v71, v[32:33], v[34:35] offset0:18 offset1:21
	;; [unrolled: 1-line block ×3, first 2 shown]
	v_dual_add_f32 v16, v22, v132 :: v_dual_sub_f32 v25, v120, v47
	v_dual_add_f32 v29, v132, v47 :: v_dual_sub_f32 v28, v47, v120
	v_fmamk_f32 v30, v26, 0x3f737871, v18
	s_delay_alu instid0(VALU_DEP_3) | instskip(SKIP_1) | instid1(VALU_DEP_4)
	v_dual_sub_f32 v31, v134, v117 :: v_dual_add_f32 v16, v16, v138
	v_fmac_f32_e32 v18, 0xbf737871, v26
	v_fma_f32 v24, -0.5, v29, v22
	s_delay_alu instid0(VALU_DEP_3) | instskip(SKIP_1) | instid1(VALU_DEP_4)
	v_dual_sub_f32 v27, v132, v138 :: v_dual_fmac_f32 v30, 0x3f167918, v31
	v_sub_f32_e32 v22, v138, v132
	v_fmac_f32_e32 v18, 0xbf167918, v31
	s_delay_alu instid0(VALU_DEP_4) | instskip(NEXT) | instid1(VALU_DEP_4)
	v_fmamk_f32 v34, v31, 0xbf737871, v24
	v_dual_fmac_f32 v24, 0x3f737871, v31 :: v_dual_add_f32 v15, v27, v28
	v_dual_add_f32 v16, v16, v120 :: v_dual_sub_f32 v27, v43, v117
	s_delay_alu instid0(VALU_DEP_3) | instskip(NEXT) | instid1(VALU_DEP_3)
	v_fmac_f32_e32 v34, 0x3f167918, v26
	v_fmac_f32_e32 v24, 0xbf167918, v26
	v_add_f32_e32 v22, v22, v25
	v_dual_fmac_f32 v30, 0x3e9e377a, v15 :: v_dual_sub_f32 v25, v131, v134
	v_fmac_f32_e32 v18, 0x3e9e377a, v15
	s_delay_alu instid0(VALU_DEP_3) | instskip(SKIP_2) | instid1(VALU_DEP_3)
	v_dual_add_f32 v15, v23, v131 :: v_dual_fmac_f32 v34, 0x3e9e377a, v22
	v_add_f32_e32 v26, v16, v47
	v_dual_add_f32 v28, v131, v43 :: v_dual_sub_f32 v29, v137, v45
	v_add_f32_e32 v15, v15, v134
	v_fmac_f32_e32 v24, 0x3e9e377a, v22
	v_sub_f32_e32 v22, v132, v47
	v_dual_add_f32 v16, v134, v117 :: v_dual_add_f32 v25, v25, v27
	s_delay_alu instid0(VALU_DEP_4) | instskip(SKIP_2) | instid1(VALU_DEP_4)
	v_add_f32_e32 v15, v15, v117
	v_sub_f32_e32 v27, v134, v131
	v_sub_f32_e32 v33, v119, v41
	v_fma_f32 v39, -0.5, v16, v23
	v_sub_f32_e32 v16, v138, v120
	v_fmac_f32_e32 v23, -0.5, v28
	v_sub_f32_e32 v36, v42, v40
	s_delay_alu instid0(VALU_DEP_4)
	v_dual_sub_f32 v38, v45, v41 :: v_dual_fmamk_f32 v31, v22, 0xbf737871, v39
	v_dual_fmac_f32 v39, 0x3f737871, v22 :: v_dual_add_f32 v28, v15, v43
	v_sub_f32_e32 v15, v117, v43
	v_fmamk_f32 v35, v16, 0x3f737871, v23
	v_fmac_f32_e32 v23, 0xbf737871, v16
	v_dual_fmac_f32 v31, 0xbf167918, v16 :: v_dual_sub_f32 v46, v7, v10
	s_delay_alu instid0(VALU_DEP_3) | instskip(NEXT) | instid1(VALU_DEP_3)
	v_fmac_f32_e32 v35, 0xbf167918, v22
	v_dual_fmac_f32 v23, 0x3f167918, v22 :: v_dual_add_f32 v22, v139, v40
	v_dual_fmac_f32 v39, 0x3f167918, v16 :: v_dual_add_f32 v16, v121, v42
	s_delay_alu instid0(VALU_DEP_4) | instskip(NEXT) | instid1(VALU_DEP_2)
	v_fmac_f32_e32 v31, 0x3e9e377a, v25
	v_fmac_f32_e32 v39, 0x3e9e377a, v25
	s_delay_alu instid0(VALU_DEP_3) | instskip(SKIP_1) | instid1(VALU_DEP_2)
	v_fma_f32 v16, -0.5, v16, v52
	v_add_f32_e32 v15, v27, v15
	v_dual_sub_f32 v25, v139, v121 :: v_dual_fmamk_f32 v32, v29, 0x3f737871, v16
	s_delay_alu instid0(VALU_DEP_1) | instskip(NEXT) | instid1(VALU_DEP_1)
	v_dual_sub_f32 v27, v40, v42 :: v_dual_fmac_f32 v32, 0x3f167918, v33
	v_add_f32_e32 v25, v25, v27
	v_dual_add_f32 v27, v52, v139 :: v_dual_fmac_f32 v52, -0.5, v22
	v_sub_f32_e32 v22, v121, v139
	s_delay_alu instid0(VALU_DEP_1) | instskip(SKIP_1) | instid1(VALU_DEP_4)
	v_add_f32_e32 v22, v22, v36
	v_sub_f32_e32 v36, v137, v119
	v_fmamk_f32 v37, v33, 0xbf737871, v52
	v_fmac_f32_e32 v52, 0x3f737871, v33
	v_fmac_f32_e32 v32, 0x3e9e377a, v25
	s_delay_alu instid0(VALU_DEP_4) | instskip(NEXT) | instid1(VALU_DEP_3)
	v_add_f32_e32 v36, v36, v38
	v_fmac_f32_e32 v52, 0xbf167918, v29
	s_delay_alu instid0(VALU_DEP_1) | instskip(SKIP_3) | instid1(VALU_DEP_3)
	v_fmac_f32_e32 v52, 0x3e9e377a, v22
	v_fmac_f32_e32 v37, 0x3f167918, v29
	;; [unrolled: 1-line block ×3, first 2 shown]
	v_add_f32_e32 v29, v137, v45
	v_dual_fmac_f32 v37, 0x3e9e377a, v22 :: v_dual_add_f32 v22, v119, v41
	s_delay_alu instid0(VALU_DEP_3)
	v_fmac_f32_e32 v16, 0xbf167918, v33
	v_fmac_f32_e32 v35, 0x3e9e377a, v15
	v_fmac_f32_e32 v23, 0x3e9e377a, v15
	v_add_f32_e32 v33, v106, v137
	v_fma_f32 v22, -0.5, v22, v106
	v_add_f32_e32 v27, v27, v121
	v_dual_fmac_f32 v16, 0x3e9e377a, v25 :: v_dual_sub_f32 v25, v121, v42
	s_delay_alu instid0(VALU_DEP_2) | instskip(SKIP_1) | instid1(VALU_DEP_2)
	v_dual_fmac_f32 v106, -0.5, v29 :: v_dual_add_f32 v15, v27, v42
	v_sub_f32_e32 v42, v41, v45
	v_fmamk_f32 v43, v25, 0x3f737871, v106
	s_delay_alu instid0(VALU_DEP_3) | instskip(SKIP_1) | instid1(VALU_DEP_1)
	v_dual_fmac_f32 v106, 0xbf737871, v25 :: v_dual_add_f32 v27, v15, v40
	v_sub_f32_e32 v15, v139, v40
	v_fmamk_f32 v40, v15, 0xbf737871, v22
	v_fmac_f32_e32 v22, 0x3f737871, v15
	v_fmac_f32_e32 v43, 0xbf167918, v15
	v_fmac_f32_e32 v106, 0x3f167918, v15
	s_delay_alu instid0(VALU_DEP_4) | instskip(NEXT) | instid1(VALU_DEP_4)
	v_fmac_f32_e32 v40, 0xbf167918, v25
	v_fmac_f32_e32 v22, 0x3f167918, v25
	v_mul_f32_e32 v25, 0x3e9e377a, v52
	s_delay_alu instid0(VALU_DEP_3) | instskip(NEXT) | instid1(VALU_DEP_3)
	v_fmac_f32_e32 v40, 0x3e9e377a, v36
	v_fmac_f32_e32 v22, 0x3e9e377a, v36
	s_delay_alu instid0(VALU_DEP_2) | instskip(NEXT) | instid1(VALU_DEP_1)
	v_dual_mul_f32 v38, 0x3f167918, v40 :: v_dual_add_f32 v29, v33, v119
	v_dual_sub_f32 v33, v119, v137 :: v_dual_fmac_f32 v38, 0x3f4f1bbd, v32
	s_delay_alu instid0(VALU_DEP_2) | instskip(NEXT) | instid1(VALU_DEP_2)
	v_add_f32_e32 v29, v29, v41
	v_add_f32_e32 v33, v33, v42
	s_delay_alu instid0(VALU_DEP_2) | instskip(NEXT) | instid1(VALU_DEP_2)
	v_add_f32_e32 v29, v29, v45
	v_fmac_f32_e32 v43, 0x3e9e377a, v33
	v_dual_fmac_f32 v106, 0x3e9e377a, v33 :: v_dual_add_f32 v45, v13, v14
	s_delay_alu instid0(VALU_DEP_2) | instskip(NEXT) | instid1(VALU_DEP_2)
	v_mul_f32_e32 v42, 0x3f737871, v43
	v_mul_f32_e32 v15, 0x3e9e377a, v106
	v_fma_f32 v25, 0x3f737871, v106, -v25
	v_mul_f32_e32 v41, 0xbf167918, v32
	v_mul_f32_e32 v32, 0x3f4f1bbd, v16
	v_fmac_f32_e32 v42, 0x3e9e377a, v37
	v_fma_f32 v15, 0xbf737871, v52, -v15
	v_mul_f32_e32 v36, 0xbf737871, v37
	v_fmac_f32_e32 v41, 0x3f4f1bbd, v40
	v_fma_f32 v40, 0x3f167918, v22, -v32
	v_mul_f32_e32 v33, 0x3f4f1bbd, v22
	s_delay_alu instid0(VALU_DEP_4) | instskip(SKIP_2) | instid1(VALU_DEP_4)
	v_dual_add_f32 v37, v9, v12 :: v_dual_fmac_f32 v36, 0x3e9e377a, v43
	v_sub_f32_e32 v22, v24, v25
	v_add_f32_e32 v32, v34, v42
	v_fma_f32 v43, 0xbf167918, v16, -v33
	v_add_f32_e32 v16, v23, v15
	v_sub_f32_e32 v23, v23, v15
	v_dual_add_f32 v15, v24, v25 :: v_dual_add_f32 v24, v26, v27
	v_dual_add_f32 v25, v28, v29 :: v_dual_sub_f32 v26, v26, v27
	v_dual_sub_f32 v27, v28, v29 :: v_dual_add_f32 v28, v30, v38
	v_dual_sub_f32 v30, v30, v38 :: v_dual_add_f32 v29, v31, v41
	v_dual_sub_f32 v31, v31, v41 :: v_dual_sub_f32 v34, v34, v42
	v_dual_add_f32 v33, v35, v36 :: v_dual_sub_f32 v42, v48, v11
	v_fma_f32 v41, -0.5, v37, v20
	v_sub_f32_e32 v35, v35, v36
	v_dual_add_f32 v36, v18, v40 :: v_dual_add_f32 v37, v39, v43
	v_sub_f32_e32 v38, v18, v40
	v_sub_f32_e32 v18, v13, v9
	v_sub_f32_e32 v40, v14, v12
	v_dual_fmamk_f32 v44, v42, 0x3f737871, v41 :: v_dual_sub_f32 v39, v39, v43
	v_fmac_f32_e32 v41, 0xbf737871, v42
	s_delay_alu instid0(VALU_DEP_3) | instskip(SKIP_2) | instid1(VALU_DEP_1)
	v_dual_sub_f32 v43, v9, v13 :: v_dual_add_f32 v18, v18, v40
	v_fma_f32 v40, -0.5, v45, v20
	v_dual_add_f32 v20, v20, v13 :: v_dual_sub_f32 v13, v13, v14
	v_dual_fmamk_f32 v47, v46, 0xbf737871, v40 :: v_dual_add_f32 v20, v20, v9
	v_dual_fmac_f32 v40, 0x3f737871, v46 :: v_dual_sub_f32 v9, v9, v12
	v_fmac_f32_e32 v41, 0xbf167918, v46
	s_delay_alu instid0(VALU_DEP_3) | instskip(NEXT) | instid1(VALU_DEP_3)
	v_dual_fmac_f32 v47, 0x3f167918, v42 :: v_dual_add_f32 v20, v20, v12
	v_fmac_f32_e32 v40, 0xbf167918, v42
	v_sub_f32_e32 v45, v12, v14
	v_fmac_f32_e32 v44, 0x3f167918, v46
	v_add_f32_e32 v42, v7, v10
	v_dual_fmac_f32 v41, 0x3e9e377a, v18 :: v_dual_add_f32 v12, v48, v11
	s_delay_alu instid0(VALU_DEP_3) | instskip(NEXT) | instid1(VALU_DEP_3)
	v_dual_add_f32 v43, v43, v45 :: v_dual_fmac_f32 v44, 0x3e9e377a, v18
	v_fma_f32 v42, -0.5, v42, v21
	v_add_f32_e32 v18, v20, v14
	s_delay_alu instid0(VALU_DEP_3) | instskip(SKIP_1) | instid1(VALU_DEP_2)
	v_dual_add_f32 v20, v21, v48 :: v_dual_fmac_f32 v47, 0x3e9e377a, v43
	v_sub_f32_e32 v14, v48, v7
	v_dual_add_f32 v20, v20, v7 :: v_dual_sub_f32 v7, v7, v48
	v_dual_fmac_f32 v21, -0.5, v12 :: v_dual_fmac_f32 v40, 0x3e9e377a, v43
	v_sub_f32_e32 v43, v11, v10
	s_delay_alu instid0(VALU_DEP_3) | instskip(SKIP_2) | instid1(VALU_DEP_4)
	v_add_f32_e32 v20, v20, v10
	v_sub_f32_e32 v10, v10, v11
	v_sub_f32_e32 v48, v6, v8
	v_dual_add_f32 v14, v14, v43 :: v_dual_fmamk_f32 v43, v13, 0xbf737871, v42
	v_fmac_f32_e32 v42, 0x3f737871, v13
	s_delay_alu instid0(VALU_DEP_2) | instskip(NEXT) | instid1(VALU_DEP_2)
	v_dual_fmac_f32 v43, 0xbf167918, v9 :: v_dual_add_f32 v12, v20, v11
	v_dual_fmac_f32 v42, 0x3f167918, v9 :: v_dual_sub_f32 v11, v8, v6
	v_dual_fmamk_f32 v20, v9, 0x3f737871, v21 :: v_dual_add_f32 v7, v7, v10
	v_fmac_f32_e32 v21, 0xbf737871, v9
	v_add_f32_e32 v9, v4, v6
	v_fmac_f32_e32 v43, 0x3e9e377a, v14
	v_fmac_f32_e32 v42, 0x3e9e377a, v14
	v_sub_f32_e32 v14, v1, v5
	v_fmac_f32_e32 v20, 0xbf167918, v13
	v_fma_f32 v9, -0.5, v9, v19
	v_dual_sub_f32 v10, v3, v4 :: v_dual_fmac_f32 v21, 0x3f167918, v13
	v_add_f32_e32 v13, v3, v8
	s_delay_alu instid0(VALU_DEP_3) | instskip(NEXT) | instid1(VALU_DEP_3)
	v_fmamk_f32 v45, v14, 0x3f737871, v9
	v_add_f32_e32 v10, v10, v11
	v_add_f32_e32 v11, v19, v3
	s_delay_alu instid0(VALU_DEP_4) | instskip(SKIP_4) | instid1(VALU_DEP_4)
	v_fmac_f32_e32 v19, -0.5, v13
	v_sub_f32_e32 v13, v4, v3
	v_sub_f32_e32 v46, v0, v2
	v_fmac_f32_e32 v9, 0xbf737871, v14
	v_dual_add_f32 v11, v11, v4 :: v_dual_fmac_f32 v20, 0x3e9e377a, v7
	v_add_f32_e32 v13, v13, v48
	s_delay_alu instid0(VALU_DEP_4) | instskip(NEXT) | instid1(VALU_DEP_4)
	v_fmac_f32_e32 v45, 0x3f167918, v46
	v_fmac_f32_e32 v9, 0xbf167918, v46
	v_dual_fmac_f32 v21, 0x3e9e377a, v7 :: v_dual_sub_f32 v4, v4, v6
	v_add_f32_e32 v7, v11, v6
	v_fmamk_f32 v49, v46, 0xbf737871, v19
	v_fmac_f32_e32 v19, 0x3f737871, v46
	v_dual_fmac_f32 v9, 0x3e9e377a, v10 :: v_dual_add_f32 v6, v1, v5
	v_fmac_f32_e32 v45, 0x3e9e377a, v10
	v_sub_f32_e32 v3, v3, v8
	v_dual_add_f32 v7, v7, v8 :: v_dual_add_f32 v8, v0, v2
	v_dual_add_f32 v10, v17, v1 :: v_dual_fmac_f32 v49, 0x3f167918, v14
	v_fmac_f32_e32 v19, 0xbf167918, v14
	s_delay_alu instid0(VALU_DEP_3) | instskip(NEXT) | instid1(VALU_DEP_3)
	v_fma_f32 v8, -0.5, v8, v17
	v_dual_fmac_f32 v17, -0.5, v6 :: v_dual_add_f32 v6, v10, v0
	v_dual_sub_f32 v11, v1, v0 :: v_dual_sub_f32 v0, v0, v1
	v_fmac_f32_e32 v49, 0x3e9e377a, v13
	v_sub_f32_e32 v10, v2, v5
	v_fmac_f32_e32 v19, 0x3e9e377a, v13
	v_sub_f32_e32 v13, v5, v2
	v_add_f32_e32 v2, v6, v2
	s_delay_alu instid0(VALU_DEP_4) | instskip(NEXT) | instid1(VALU_DEP_2)
	v_add_f32_e32 v0, v0, v10
	v_add_f32_e32 v10, v2, v5
	v_mul_f32_e32 v46, 0xbf167918, v45
	v_fmamk_f32 v1, v3, 0xbf737871, v8
	v_fmac_f32_e32 v8, 0x3f737871, v3
	s_delay_alu instid0(VALU_DEP_1) | instskip(NEXT) | instid1(VALU_DEP_1)
	v_dual_fmac_f32 v8, 0x3f167918, v4 :: v_dual_add_f32 v11, v11, v13
	v_fmac_f32_e32 v8, 0x3e9e377a, v11
	v_fmamk_f32 v14, v4, 0x3f737871, v17
	s_delay_alu instid0(VALU_DEP_1) | instskip(SKIP_1) | instid1(VALU_DEP_2)
	v_dual_fmac_f32 v14, 0xbf167918, v3 :: v_dual_fmac_f32 v1, 0xbf167918, v4
	v_dual_fmac_f32 v17, 0xbf737871, v4 :: v_dual_sub_f32 v6, v18, v7
	v_fmac_f32_e32 v14, 0x3e9e377a, v0
	v_mul_f32_e32 v2, 0x3f4f1bbd, v9
	s_delay_alu instid0(VALU_DEP_3) | instskip(SKIP_1) | instid1(VALU_DEP_4)
	v_fmac_f32_e32 v17, 0x3f167918, v3
	v_mul_f32_e32 v3, 0x3f4f1bbd, v8
	v_mul_f32_e32 v48, 0x3f737871, v14
	s_delay_alu instid0(VALU_DEP_1) | instskip(NEXT) | instid1(VALU_DEP_1)
	v_dual_fmac_f32 v1, 0x3e9e377a, v11 :: v_dual_fmac_f32 v48, 0x3e9e377a, v49
	v_mul_f32_e32 v13, 0x3f167918, v1
	v_fmac_f32_e32 v46, 0x3f4f1bbd, v1
	v_mul_f32_e32 v1, 0x3e9e377a, v19
	s_delay_alu instid0(VALU_DEP_3)
	v_fmac_f32_e32 v13, 0x3f4f1bbd, v45
	v_fmac_f32_e32 v17, 0x3e9e377a, v0
	v_mul_f32_e32 v45, 0xbf737871, v49
	v_fma_f32 v49, 0xbf167918, v9, -v3
	v_add_f32_e32 v5, v12, v10
	v_add_f32_e32 v9, v43, v46
	v_sub_f32_e32 v11, v43, v46
	v_fmac_f32_e32 v45, 0x3e9e377a, v14
	v_fma_f32 v14, 0x3f167918, v8, -v2
	v_add_f32_e32 v8, v44, v13
	v_mul_f32_e32 v0, 0x3e9e377a, v17
	v_fma_f32 v4, 0x3f737871, v17, -v1
	s_delay_alu instid0(VALU_DEP_2) | instskip(NEXT) | instid1(VALU_DEP_2)
	v_fma_f32 v0, 0xbf737871, v19, -v0
	v_dual_sub_f32 v2, v40, v4 :: v_dual_and_b32 v19, 0xffff, v103
	s_delay_alu instid0(VALU_DEP_2)
	v_add_f32_e32 v1, v21, v0
	v_sub_f32_e32 v3, v21, v0
	v_mul_lo_u16 v21, 0x89, v81
	v_add_f32_e32 v0, v40, v4
	v_dual_add_f32 v4, v18, v7 :: v_dual_sub_f32 v7, v12, v10
	v_sub_f32_e32 v10, v44, v13
	v_mul_u32_u24_e32 v43, 0xf0, v19
	v_lshlrev_b32_e32 v44, 3, v82
	v_lshrrev_b16 v107, 12, v21
	v_add_f32_e32 v19, v41, v14
	v_sub_f32_e32 v40, v41, v14
	v_mul_u32_u24_e32 v21, 0xf0, v80
	v_add3_u32 v14, 0, v43, v44
	v_mul_lo_u16 v43, v107, 30
	v_lshlrev_b32_e32 v44, 3, v83
	v_dual_add_f32 v12, v47, v48 :: v_dual_add_f32 v13, v20, v45
	ds_store_2addr_b64 v14, v[24:25], v[28:29] offset1:3
	v_mul_lo_u16 v24, 0x89, v79
	ds_store_2addr_b64 v14, v[32:33], v[15:16] offset0:6 offset1:9
	v_sub_nc_u16 v15, v56, v43
	v_add3_u32 v16, 0, v21, v44
	v_sub_f32_e32 v18, v20, v45
	v_lshrrev_b16 v103, 12, v24
	v_add_f32_e32 v20, v42, v49
	v_and_b32_e32 v108, 0xff, v15
	ds_store_2addr_b64 v14, v[36:37], v[26:27] offset0:12 offset1:15
	ds_store_2addr_b64 v14, v[30:31], v[34:35] offset0:18 offset1:21
	;; [unrolled: 1-line block ×3, first 2 shown]
	ds_store_2addr_b64 v16, v[4:5], v[8:9] offset1:3
	v_mul_lo_u16 v4, v103, 30
	ds_store_2addr_b64 v16, v[12:13], v[0:1] offset0:6 offset1:9
	v_mul_u32_u24_e32 v0, 9, v108
	v_sub_f32_e32 v41, v42, v49
	ds_store_2addr_b64 v16, v[19:20], v[6:7] offset0:12 offset1:15
	v_sub_nc_u16 v1, v58, v4
	v_sub_f32_e32 v17, v47, v48
	v_lshlrev_b32_e32 v48, 3, v0
	v_mul_u32_u24_e32 v14, 0x8889, v78
	s_delay_alu instid0(VALU_DEP_4)
	v_and_b32_e32 v106, 0xff, v1
	ds_store_2addr_b64 v16, v[10:11], v[17:18] offset0:18 offset1:21
	ds_store_2addr_b64 v16, v[2:3], v[40:41] offset0:24 offset1:27
	s_waitcnt lgkmcnt(0)
	s_barrier
	buffer_gl0_inv
	global_load_b128 v[24:27], v48, s[4:5] offset:216
	v_lshrrev_b32_e32 v104, 20, v14
	v_mul_u32_u24_e32 v1, 9, v106
	s_delay_alu instid0(VALU_DEP_2) | instskip(NEXT) | instid1(VALU_DEP_2)
	v_mul_lo_u16 v2, v104, 30
	v_lshlrev_b32_e32 v49, 3, v1
	s_delay_alu instid0(VALU_DEP_2) | instskip(SKIP_2) | instid1(VALU_DEP_1)
	v_sub_nc_u16 v0, v69, v2
	global_load_b128 v[20:23], v49, s[4:5] offset:216
	v_and_b32_e32 v105, 0xffff, v0
	v_mul_u32_u24_e32 v0, 9, v105
	s_delay_alu instid0(VALU_DEP_1)
	v_lshlrev_b32_e32 v50, 3, v0
	s_clause 0xc
	global_load_b128 v[16:19], v50, s[4:5] offset:216
	global_load_b128 v[8:11], v48, s[4:5] offset:232
	;; [unrolled: 1-line block ×10, first 2 shown]
	global_load_b64 v[70:71], v48, s[4:5] offset:280
	global_load_b64 v[72:73], v49, s[4:5] offset:280
	;; [unrolled: 1-line block ×3, first 2 shown]
	ds_load_b64 v[80:81], v87
	ds_load_b64 v[78:79], v99
	ds_load_2addr_b64 v[52:55], v76 offset0:104 offset1:194
	ds_load_2addr_b64 v[48:51], v77 offset0:118 offset1:208
	ds_load_b64 v[82:83], v101
	ds_load_b64 v[76:77], v100
	;; [unrolled: 1-line block ×4, first 2 shown]
	s_waitcnt vmcnt(14) lgkmcnt(7)
	v_mul_f32_e32 v109, v25, v81
	s_delay_alu instid0(VALU_DEP_1)
	v_fma_f32 v118, v24, v80, -v109
	ds_load_2addr_b64 v[109:112], v88 offset0:56 offset1:146
	s_waitcnt lgkmcnt(7)
	v_mul_f32_e32 v119, v27, v78
	s_waitcnt vmcnt(13) lgkmcnt(5)
	v_mul_f32_e32 v121, v48, v23
	s_waitcnt vmcnt(11) lgkmcnt(0)
	v_mul_f32_e32 v124, v109, v11
	v_mul_f32_e32 v117, v25, v80
	;; [unrolled: 1-line block ×3, first 2 shown]
	v_fmac_f32_e32 v119, v26, v79
	s_delay_alu instid0(VALU_DEP_3) | instskip(NEXT) | instid1(VALU_DEP_3)
	v_dual_fmac_f32 v124, v110, v10 :: v_dual_fmac_f32 v117, v24, v81
	v_fma_f32 v120, v26, v78, -v25
	v_mul_f32_e32 v24, v53, v21
	v_dual_mul_f32 v21, v52, v21 :: v_dual_mul_f32 v78, v49, v23
	s_delay_alu instid0(VALU_DEP_2) | instskip(NEXT) | instid1(VALU_DEP_2)
	v_fma_f32 v23, v52, v20, -v24
	v_dual_fmac_f32 v21, v53, v20 :: v_dual_mul_f32 v20, v55, v17
	v_mul_f32_e32 v17, v54, v17
	ds_load_2addr_b64 v[24:27], v102 offset0:132 offset1:222
	v_fma_f32 v122, v48, v22, -v78
	ds_load_2addr_b64 v[78:81], v90 offset0:160 offset1:250
	v_fma_f32 v20, v54, v16, -v20
	v_fmac_f32_e32 v17, v55, v16
	ds_load_2addr_b64 v[52:55], v92 offset0:108 offset1:198
	v_dual_mul_f32 v48, v51, v19 :: v_dual_fmac_f32 v121, v49, v22
	v_mul_f32_e32 v16, v50, v19
	v_mul_f32_e32 v22, v9, v116
	;; [unrolled: 1-line block ×4, first 2 shown]
	v_fma_f32 v19, v50, v18, -v48
	v_fmac_f32_e32 v16, v51, v18
	v_fma_f32 v18, v8, v115, -v22
	ds_load_2addr_b64 v[48:51], v94 offset0:84 offset1:174
	v_fma_f32 v22, v109, v10, -v9
	s_waitcnt vmcnt(10) lgkmcnt(3)
	v_dual_mul_f32 v109, v111, v3 :: v_dual_mul_f32 v110, v24, v1
	s_waitcnt vmcnt(7) lgkmcnt(2)
	v_dual_mul_f32 v128, v78, v29 :: v_dual_fmac_f32 v123, v8, v116
	v_dual_mul_f32 v8, v112, v3 :: v_dual_mul_f32 v3, v25, v1
	s_delay_alu instid0(VALU_DEP_3) | instskip(SKIP_1) | instid1(VALU_DEP_3)
	v_fmac_f32_e32 v109, v112, v2
	s_waitcnt lgkmcnt(1)
	v_dual_mul_f32 v115, v54, v13 :: v_dual_fmac_f32 v128, v79, v28
	s_delay_alu instid0(VALU_DEP_3)
	v_fma_f32 v111, v111, v2, -v8
	v_fma_f32 v112, v24, v0, -v3
	v_mul_f32_e32 v2, v53, v7
	v_dual_mul_f32 v8, v52, v7 :: v_dual_mul_f32 v3, v55, v13
	v_fmac_f32_e32 v110, v25, v0
	v_mul_f32_e32 v0, v26, v5
	s_delay_alu instid0(VALU_DEP_4) | instskip(NEXT) | instid1(VALU_DEP_4)
	v_fma_f32 v10, v52, v6, -v2
	v_fmac_f32_e32 v8, v53, v6
	v_fma_f32 v116, v54, v12, -v3
	v_fmac_f32_e32 v115, v55, v12
	ds_load_2addr_b64 v[52:55], v93 offset0:112 offset1:202
	v_mul_f32_e32 v1, v27, v5
	v_fmac_f32_e32 v0, v27, v4
	s_waitcnt lgkmcnt(1)
	v_mul_f32_e32 v2, v49, v15
	v_mul_f32_e32 v3, v51, v31
	v_fma_f32 v1, v26, v4, -v1
	ds_load_2addr_b64 v[24:27], v59 offset0:8 offset1:98
	v_fma_f32 v126, v48, v14, -v2
	s_waitcnt vmcnt(6)
	v_mul_f32_e32 v4, v81, v33
	v_mul_f32_e32 v2, v80, v33
	v_fma_f32 v127, v50, v30, -v3
	v_mul_f32_e32 v3, v79, v29
	s_delay_alu instid0(VALU_DEP_4) | instskip(NEXT) | instid1(VALU_DEP_4)
	v_fma_f32 v4, v80, v32, -v4
	v_fmac_f32_e32 v2, v81, v32
	s_delay_alu instid0(VALU_DEP_3) | instskip(SKIP_2) | instid1(VALU_DEP_1)
	v_fma_f32 v78, v78, v28, -v3
	s_waitcnt vmcnt(5) lgkmcnt(0)
	v_dual_mul_f32 v32, v26, v37 :: v_dual_mul_f32 v3, v25, v35
	v_dual_mul_f32 v11, v24, v35 :: v_dual_fmac_f32 v32, v27, v36
	v_mul_f32_e32 v5, v27, v37
	s_delay_alu instid0(VALU_DEP_3) | instskip(NEXT) | instid1(VALU_DEP_3)
	v_fma_f32 v12, v24, v34, -v3
	v_dual_fmac_f32 v11, v25, v34 :: v_dual_mul_f32 v34, v52, v39
	s_delay_alu instid0(VALU_DEP_3) | instskip(SKIP_4) | instid1(VALU_DEP_3)
	v_fma_f32 v33, v26, v36, -v5
	ds_load_2addr_b64 v[24:27], v95 offset0:88 offset1:178
	v_mul_f32_e32 v125, v50, v31
	v_mul_f32_e32 v3, v53, v39
	v_fmac_f32_e32 v34, v53, v38
	v_fmac_f32_e32 v125, v51, v30
	ds_load_2addr_b64 v[28:31], v91 offset0:36 offset1:126
	v_mul_f32_e32 v15, v48, v15
	v_fma_f32 v35, v52, v38, -v3
	s_waitcnt vmcnt(4)
	v_dual_mul_f32 v3, v55, v43 :: v_dual_sub_f32 v38, v116, v33
	v_mul_f32_e32 v43, v54, v43
	v_fmac_f32_e32 v15, v49, v14
	ds_load_2addr_b64 v[48:51], v89 offset0:60 offset1:150
	v_fma_f32 v52, v54, v42, -v3
	v_sub_f32_e32 v54, v119, v34
	v_fmac_f32_e32 v43, v55, v42
	v_add_f32_e32 v81, v120, v35
	s_waitcnt vmcnt(0) lgkmcnt(0)
	v_mul_f32_e32 v9, v27, v75
	s_barrier
	buffer_gl0_inv
	v_fma_f32 v81, -0.5, v81, v113
	v_fma_f32 v9, v26, v74, -v9
	v_mul_f32_e32 v6, v29, v47
	v_mul_f32_e32 v13, v28, v47
	s_delay_alu instid0(VALU_DEP_2) | instskip(NEXT) | instid1(VALU_DEP_2)
	v_fma_f32 v14, v28, v46, -v6
	v_fmac_f32_e32 v13, v29, v46
	v_mul_f32_e32 v3, v51, v45
	v_mul_f32_e32 v5, v49, v41
	v_dual_mul_f32 v41, v48, v41 :: v_dual_mul_f32 v6, v26, v75
	v_mul_f32_e32 v28, v30, v71
	s_delay_alu instid0(VALU_DEP_4) | instskip(SKIP_4) | instid1(VALU_DEP_4)
	v_fma_f32 v7, v50, v44, -v3
	v_mul_f32_e32 v3, v31, v71
	v_fma_f32 v42, v48, v40, -v5
	v_add_f32_e32 v48, v113, v120
	v_dual_fmac_f32 v41, v49, v40 :: v_dual_mul_f32 v40, v24, v73
	v_fma_f32 v29, v30, v70, -v3
	v_mul_f32_e32 v5, v50, v45
	v_dual_mul_f32 v3, v25, v73 :: v_dual_fmac_f32 v6, v27, v74
	s_delay_alu instid0(VALU_DEP_4)
	v_fmac_f32_e32 v40, v25, v72
	v_sub_f32_e32 v25, v18, v116
	v_sub_f32_e32 v27, v29, v33
	v_fmac_f32_e32 v5, v51, v44
	v_fmac_f32_e32 v28, v31, v70
	v_fma_f32 v44, v24, v72, -v3
	v_dual_add_f32 v3, v115, v32 :: v_dual_sub_f32 v70, v120, v35
	v_add_f32_e32 v24, v116, v33
	v_sub_f32_e32 v72, v124, v15
	v_add_f32_e32 v47, v25, v27
	v_sub_f32_e32 v25, v119, v124
	v_sub_f32_e32 v27, v34, v15
	v_fma_f32 v36, -0.5, v3, v117
	v_sub_f32_e32 v3, v123, v115
	v_fma_f32 v37, -0.5, v24, v118
	v_dual_sub_f32 v31, v123, v28 :: v_dual_sub_f32 v74, v22, v126
	v_dual_sub_f32 v24, v28, v32 :: v_dual_add_f32 v51, v25, v27
	v_add_f32_e32 v27, v22, v126
	s_delay_alu instid0(VALU_DEP_3) | instskip(NEXT) | instid1(VALU_DEP_3)
	v_dual_sub_f32 v30, v18, v29 :: v_dual_fmamk_f32 v39, v31, 0x3f737871, v37
	v_add_f32_e32 v46, v3, v24
	v_sub_f32_e32 v24, v35, v126
	s_delay_alu instid0(VALU_DEP_4) | instskip(SKIP_4) | instid1(VALU_DEP_3)
	v_fma_f32 v53, -0.5, v27, v113
	v_add_f32_e32 v27, v117, v123
	v_dual_sub_f32 v3, v120, v22 :: v_dual_fmamk_f32 v26, v30, 0xbf737871, v36
	v_dual_add_f32 v108, v119, v34 :: v_dual_lshlrev_b32 v25, 3, v108
	v_fmac_f32_e32 v36, 0x3f737871, v30
	v_add_f32_e32 v50, v3, v24
	v_add_f32_e32 v24, v48, v22
	v_fmac_f32_e32 v26, 0xbf167918, v38
	v_dual_sub_f32 v22, v22, v120 :: v_dual_and_b32 v3, 0xffff, v107
	v_fmamk_f32 v107, v72, 0xbf737871, v81
	s_delay_alu instid0(VALU_DEP_4) | instskip(NEXT) | instid1(VALU_DEP_4)
	v_add_f32_e32 v24, v24, v126
	v_fmac_f32_e32 v26, 0x3e9e377a, v46
	v_fmac_f32_e32 v36, 0x3f167918, v38
	s_delay_alu instid0(VALU_DEP_3) | instskip(NEXT) | instid1(VALU_DEP_3)
	v_dual_add_f32 v48, v24, v35 :: v_dual_sub_f32 v45, v115, v32
	v_mul_f32_e32 v49, 0x3f167918, v26
	v_sub_f32_e32 v35, v126, v35
	v_dual_fmac_f32 v81, 0x3f737871, v72 :: v_dual_add_f32 v24, v124, v15
	s_delay_alu instid0(VALU_DEP_4) | instskip(SKIP_1) | instid1(VALU_DEP_4)
	v_fmac_f32_e32 v39, 0x3f167918, v45
	v_fmac_f32_e32 v36, 0x3e9e377a, v46
	v_add_f32_e32 v22, v22, v35
	s_delay_alu instid0(VALU_DEP_4) | instskip(NEXT) | instid1(VALU_DEP_4)
	v_fma_f32 v55, -0.5, v24, v114
	v_fmac_f32_e32 v39, 0x3e9e377a, v47
	s_delay_alu instid0(VALU_DEP_1) | instskip(SKIP_2) | instid1(VALU_DEP_2)
	v_fmac_f32_e32 v49, 0x3f4f1bbd, v39
	v_fmac_f32_e32 v107, 0x3f167918, v54
	v_mul_f32_e32 v39, 0xbf167918, v39
	v_fmac_f32_e32 v107, 0x3e9e377a, v22
	v_fmac_f32_e32 v81, 0xbf167918, v54
	s_delay_alu instid0(VALU_DEP_3) | instskip(NEXT) | instid1(VALU_DEP_2)
	v_dual_fmac_f32 v39, 0x3f4f1bbd, v26 :: v_dual_add_f32 v26, v114, v119
	v_dual_fmac_f32 v114, -0.5, v108 :: v_dual_fmac_f32 v81, 0x3e9e377a, v22
	v_sub_f32_e32 v22, v116, v18
	v_mul_u32_u24_e32 v3, 0x960, v3
	s_delay_alu instid0(VALU_DEP_3) | instskip(SKIP_1) | instid1(VALU_DEP_3)
	v_fmamk_f32 v108, v74, 0x3f737871, v114
	v_fmac_f32_e32 v114, 0xbf737871, v74
	v_add3_u32 v3, 0, v3, v25
	s_delay_alu instid0(VALU_DEP_3) | instskip(SKIP_2) | instid1(VALU_DEP_3)
	v_dual_add_f32 v25, v26, v124 :: v_dual_fmac_f32 v108, 0xbf167918, v70
	v_add_f32_e32 v26, v118, v18
	v_add_f32_e32 v18, v18, v29
	v_dual_fmac_f32 v114, 0x3f167918, v70 :: v_dual_add_f32 v25, v25, v15
	s_delay_alu instid0(VALU_DEP_3) | instskip(NEXT) | instid1(VALU_DEP_3)
	v_dual_sub_f32 v15, v15, v34 :: v_dual_add_f32 v24, v26, v116
	v_fmac_f32_e32 v118, -0.5, v18
	s_delay_alu instid0(VALU_DEP_3) | instskip(SKIP_1) | instid1(VALU_DEP_4)
	v_dual_add_f32 v26, v27, v115 :: v_dual_add_f32 v75, v25, v34
	v_add_f32_e32 v34, v123, v28
	v_add_f32_e32 v24, v24, v33
	v_sub_f32_e32 v18, v115, v123
	s_delay_alu instid0(VALU_DEP_3) | instskip(NEXT) | instid1(VALU_DEP_1)
	v_dual_add_f32 v26, v26, v32 :: v_dual_fmac_f32 v117, -0.5, v34
	v_add_f32_e32 v80, v26, v28
	v_sub_f32_e32 v28, v32, v28
	s_delay_alu instid0(VALU_DEP_3) | instskip(SKIP_1) | instid1(VALU_DEP_3)
	v_dual_fmamk_f32 v32, v38, 0x3f737871, v117 :: v_dual_add_f32 v79, v24, v29
	v_sub_f32_e32 v29, v33, v29
	v_dual_fmac_f32 v117, 0xbf737871, v38 :: v_dual_add_f32 v18, v18, v28
	s_delay_alu instid0(VALU_DEP_3) | instskip(NEXT) | instid1(VALU_DEP_4)
	v_fmac_f32_e32 v32, 0xbf167918, v30
	v_dual_add_f32 v24, v48, v79 :: v_dual_fmamk_f32 v71, v54, 0x3f737871, v53
	v_fmac_f32_e32 v53, 0xbf737871, v54
	v_dual_fmamk_f32 v33, v45, 0xbf737871, v118 :: v_dual_add_f32 v22, v22, v29
	v_fmac_f32_e32 v118, 0x3f737871, v45
	s_delay_alu instid0(VALU_DEP_4) | instskip(NEXT) | instid1(VALU_DEP_4)
	v_fmac_f32_e32 v71, 0x3f167918, v72
	v_fmac_f32_e32 v53, 0xbf167918, v72
	v_add_f32_e32 v25, v75, v80
	v_fmac_f32_e32 v117, 0x3f167918, v30
	v_fmac_f32_e32 v118, 0xbf167918, v31
	;; [unrolled: 1-line block ×6, first 2 shown]
	v_dual_fmac_f32 v118, 0x3e9e377a, v22 :: v_dual_sub_f32 v35, v124, v119
	v_fmac_f32_e32 v37, 0xbf737871, v31
	s_delay_alu instid0(VALU_DEP_4) | instskip(SKIP_1) | instid1(VALU_DEP_4)
	v_fmac_f32_e32 v33, 0x3e9e377a, v22
	v_fmamk_f32 v73, v70, 0xbf737871, v55
	v_mul_f32_e32 v18, 0x3e9e377a, v118
	v_dual_mul_f32 v28, 0x3e9e377a, v117 :: v_dual_add_f32 v15, v35, v15
	s_delay_alu instid0(VALU_DEP_4) | instskip(NEXT) | instid1(VALU_DEP_4)
	v_mul_f32_e32 v22, 0xbf737871, v33
	v_fmac_f32_e32 v73, 0xbf167918, v74
	v_fmac_f32_e32 v71, 0x3e9e377a, v50
	;; [unrolled: 1-line block ×4, first 2 shown]
	s_delay_alu instid0(VALU_DEP_4) | instskip(SKIP_3) | instid1(VALU_DEP_4)
	v_dual_fmac_f32 v22, 0x3e9e377a, v32 :: v_dual_fmac_f32 v73, 0x3e9e377a, v51
	v_fmac_f32_e32 v114, 0x3e9e377a, v15
	v_fma_f32 v18, 0x3f737871, v117, -v18
	v_mul_f32_e32 v15, 0x3f737871, v32
	v_add_f32_e32 v31, v108, v22
	v_add_f32_e32 v27, v73, v39
	v_sub_f32_e32 v35, v73, v39
	v_dual_sub_f32 v39, v108, v22 :: v_dual_sub_f32 v22, v121, v43
	v_fmac_f32_e32 v37, 0xbf167918, v45
	v_fmac_f32_e32 v15, 0x3e9e377a, v33
	;; [unrolled: 1-line block ×3, first 2 shown]
	v_mul_f32_e32 v33, 0x3f4f1bbd, v36
	v_fma_f32 v45, 0xbf737871, v118, -v28
	v_fmac_f32_e32 v37, 0x3e9e377a, v47
	v_add_f32_e32 v30, v107, v15
	v_fmac_f32_e32 v55, 0x3e9e377a, v51
	v_sub_f32_e32 v38, v107, v15
	s_delay_alu instid0(VALU_DEP_4) | instskip(SKIP_3) | instid1(VALU_DEP_4)
	v_dual_add_f32 v15, v111, v127 :: v_dual_mul_f32 v32, 0x3f4f1bbd, v37
	v_fma_f32 v47, 0xbf167918, v37, -v33
	v_add_f32_e32 v26, v71, v49
	v_dual_add_f32 v33, v114, v45 :: v_dual_sub_f32 v28, v48, v79
	v_fma_f32 v46, 0x3f167918, v36, -v32
	s_delay_alu instid0(VALU_DEP_4) | instskip(SKIP_1) | instid1(VALU_DEP_3)
	v_dual_add_f32 v32, v81, v18 :: v_dual_add_f32 v37, v55, v47
	v_fma_f32 v15, -0.5, v15, v82
	v_dual_sub_f32 v29, v75, v80 :: v_dual_add_f32 v36, v53, v46
	v_sub_f32_e32 v34, v71, v49
	ds_store_2addr_b64 v3, v[24:25], v[26:27] offset1:30
	ds_store_2addr_b64 v3, v[30:31], v[32:33] offset0:60 offset1:90
	ds_store_2addr_b64 v3, v[36:37], v[28:29] offset0:120 offset1:150
	;; [unrolled: 1-line block ×3, first 2 shown]
	v_fmamk_f32 v36, v22, 0x3f737871, v15
	v_sub_f32_e32 v24, v81, v18
	v_sub_f32_e32 v18, v122, v111
	v_dual_sub_f32 v28, v52, v127 :: v_dual_add_f32 v29, v122, v52
	v_sub_f32_e32 v30, v109, v125
	v_sub_f32_e32 v25, v114, v45
	v_dual_fmac_f32 v15, 0xbf737871, v22 :: v_dual_sub_f32 v34, v110, v40
	s_delay_alu instid0(VALU_DEP_4) | instskip(SKIP_4) | instid1(VALU_DEP_4)
	v_add_f32_e32 v18, v18, v28
	v_fma_f32 v28, -0.5, v29, v82
	v_add_f32_e32 v29, v82, v122
	v_fmac_f32_e32 v36, 0x3f167918, v30
	v_dual_sub_f32 v31, v111, v122 :: v_dual_sub_f32 v38, v128, v41
	v_fmamk_f32 v45, v30, 0xbf737871, v28
	s_delay_alu instid0(VALU_DEP_4) | instskip(SKIP_1) | instid1(VALU_DEP_3)
	v_dual_fmac_f32 v28, 0x3f737871, v30 :: v_dual_add_f32 v29, v29, v111
	v_dual_sub_f32 v32, v127, v52 :: v_dual_fmac_f32 v15, 0xbf167918, v30
	v_fmac_f32_e32 v45, 0x3f167918, v22
	s_delay_alu instid0(VALU_DEP_3) | instskip(NEXT) | instid1(VALU_DEP_4)
	v_fmac_f32_e32 v28, 0xbf167918, v22
	v_add_f32_e32 v22, v29, v127
	s_delay_alu instid0(VALU_DEP_4) | instskip(SKIP_2) | instid1(VALU_DEP_4)
	v_add_f32_e32 v30, v31, v32
	v_dual_fmac_f32 v36, 0x3e9e377a, v18 :: v_dual_add_f32 v29, v109, v125
	v_sub_f32_e32 v39, v42, v44
	v_dual_fmac_f32 v15, 0x3e9e377a, v18 :: v_dual_add_f32 v18, v22, v52
	s_delay_alu instid0(VALU_DEP_4) | instskip(SKIP_3) | instid1(VALU_DEP_4)
	v_dual_add_f32 v22, v83, v121 :: v_dual_fmac_f32 v45, 0x3e9e377a, v30
	v_fmac_f32_e32 v28, 0x3e9e377a, v30
	v_sub_f32_e32 v30, v122, v52
	v_sub_f32_e32 v26, v53, v46
	v_add_f32_e32 v22, v22, v109
	v_fma_f32 v46, -0.5, v29, v83
	v_add_f32_e32 v33, v121, v43
	v_sub_f32_e32 v31, v121, v109
	v_sub_f32_e32 v32, v43, v125
	v_dual_sub_f32 v29, v111, v127 :: v_dual_add_f32 v22, v22, v125
	v_fmamk_f32 v37, v30, 0xbf737871, v46
	v_dual_fmac_f32 v46, 0x3f737871, v30 :: v_dual_fmac_f32 v83, -0.5, v33
	v_sub_f32_e32 v27, v55, v47
	v_dual_add_f32 v31, v31, v32 :: v_dual_sub_f32 v32, v109, v121
	v_add_f32_e32 v33, v22, v43
	v_fmac_f32_e32 v37, 0xbf167918, v29
	v_fmac_f32_e32 v46, 0x3f167918, v29
	v_sub_f32_e32 v22, v125, v43
	v_fmamk_f32 v43, v29, 0x3f737871, v83
	v_fmac_f32_e32 v83, 0xbf737871, v29
	v_dual_fmac_f32 v37, 0x3e9e377a, v31 :: v_dual_sub_f32 v48, v41, v40
	v_dual_fmac_f32 v46, 0x3e9e377a, v31 :: v_dual_add_f32 v29, v78, v42
	v_add_f32_e32 v22, v32, v22
	v_fmac_f32_e32 v43, 0xbf167918, v30
	v_sub_f32_e32 v31, v112, v78
	v_sub_f32_e32 v32, v44, v42
	v_dual_fmac_f32 v83, 0x3f167918, v30 :: v_dual_add_f32 v30, v112, v44
	v_fma_f32 v29, -0.5, v29, v23
	v_add_f32_e32 v50, v19, v14
	s_delay_alu instid0(VALU_DEP_4) | instskip(NEXT) | instid1(VALU_DEP_4)
	v_add_f32_e32 v31, v31, v32
	v_dual_add_f32 v32, v23, v112 :: v_dual_fmac_f32 v23, -0.5, v30
	v_sub_f32_e32 v30, v78, v112
	v_fmamk_f32 v35, v34, 0x3f737871, v29
	v_sub_f32_e32 v51, v8, v11
	s_delay_alu instid0(VALU_DEP_4) | instskip(NEXT) | instid1(VALU_DEP_4)
	v_dual_add_f32 v32, v32, v78 :: v_dual_fmamk_f32 v47, v38, 0xbf737871, v23
	v_dual_fmac_f32 v23, 0x3f737871, v38 :: v_dual_add_f32 v30, v30, v39
	s_delay_alu instid0(VALU_DEP_4) | instskip(SKIP_1) | instid1(VALU_DEP_4)
	v_fmac_f32_e32 v35, 0x3f167918, v38
	v_sub_f32_e32 v39, v110, v128
	v_fmac_f32_e32 v47, 0x3f167918, v34
	s_delay_alu instid0(VALU_DEP_4) | instskip(NEXT) | instid1(VALU_DEP_2)
	v_fmac_f32_e32 v23, 0xbf167918, v34
	v_fmac_f32_e32 v47, 0x3e9e377a, v30
	;; [unrolled: 1-line block ×3, first 2 shown]
	s_delay_alu instid0(VALU_DEP_3) | instskip(NEXT) | instid1(VALU_DEP_2)
	v_dual_fmac_f32 v23, 0x3e9e377a, v30 :: v_dual_add_f32 v30, v128, v41
	v_dual_add_f32 v34, v110, v40 :: v_dual_fmac_f32 v29, 0xbf167918, v38
	v_add_f32_e32 v38, v21, v110
	s_delay_alu instid0(VALU_DEP_3) | instskip(NEXT) | instid1(VALU_DEP_2)
	v_fma_f32 v30, -0.5, v30, v21
	v_dual_fmac_f32 v21, -0.5, v34 :: v_dual_add_f32 v34, v38, v128
	v_sub_f32_e32 v38, v128, v110
	s_delay_alu instid0(VALU_DEP_2) | instskip(NEXT) | instid1(VALU_DEP_2)
	v_add_f32_e32 v34, v34, v41
	v_dual_add_f32 v38, v38, v48 :: v_dual_fmac_f32 v43, 0x3e9e377a, v22
	s_delay_alu instid0(VALU_DEP_2) | instskip(SKIP_1) | instid1(VALU_DEP_1)
	v_dual_add_f32 v34, v34, v40 :: v_dual_fmac_f32 v83, 0x3e9e377a, v22
	v_add_f32_e32 v22, v32, v42
	v_add_f32_e32 v32, v22, v44
	v_sub_f32_e32 v22, v112, v44
	s_delay_alu instid0(VALU_DEP_1) | instskip(SKIP_4) | instid1(VALU_DEP_1)
	v_fmamk_f32 v44, v22, 0xbf737871, v30
	v_fmac_f32_e32 v30, 0x3f737871, v22
	v_fmac_f32_e32 v35, 0x3e9e377a, v31
	;; [unrolled: 1-line block ×3, first 2 shown]
	v_dual_sub_f32 v31, v78, v42 :: v_dual_sub_f32 v42, v40, v41
	v_fmamk_f32 v49, v31, 0x3f737871, v21
	s_delay_alu instid0(VALU_DEP_2)
	v_dual_add_f32 v39, v39, v42 :: v_dual_fmac_f32 v44, 0xbf167918, v31
	v_fmac_f32_e32 v21, 0xbf737871, v31
	v_fmac_f32_e32 v30, 0x3f167918, v31
	v_mul_f32_e32 v31, 0x3e9e377a, v23
	v_fmac_f32_e32 v49, 0xbf167918, v22
	v_fmac_f32_e32 v44, 0x3e9e377a, v39
	;; [unrolled: 1-line block ×3, first 2 shown]
	s_delay_alu instid0(VALU_DEP_3) | instskip(NEXT) | instid1(VALU_DEP_3)
	v_dual_fmac_f32 v30, 0x3e9e377a, v39 :: v_dual_fmac_f32 v49, 0x3e9e377a, v38
	v_mul_f32_e32 v40, 0x3f167918, v44
	s_delay_alu instid0(VALU_DEP_3) | instskip(NEXT) | instid1(VALU_DEP_3)
	v_fmac_f32_e32 v21, 0x3e9e377a, v38
	v_mul_f32_e32 v38, 0x3f4f1bbd, v30
	s_delay_alu instid0(VALU_DEP_4) | instskip(NEXT) | instid1(VALU_DEP_3)
	v_mul_f32_e32 v42, 0x3f737871, v49
	v_mul_f32_e32 v22, 0x3e9e377a, v21
	v_mul_f32_e32 v41, 0xbf167918, v35
	v_fmac_f32_e32 v40, 0x3f4f1bbd, v35
	v_fma_f32 v31, 0x3f737871, v21, -v31
	s_delay_alu instid0(VALU_DEP_3) | instskip(NEXT) | instid1(VALU_DEP_2)
	v_fmac_f32_e32 v41, 0x3f4f1bbd, v44
	v_add_f32_e32 v21, v28, v31
	v_dual_sub_f32 v28, v28, v31 :: v_dual_add_f32 v31, v33, v34
	v_dual_sub_f32 v33, v33, v34 :: v_dual_add_f32 v34, v36, v40
	v_sub_f32_e32 v36, v36, v40
	v_mul_f32_e32 v44, 0xbf737871, v47
	v_fmac_f32_e32 v42, 0x3e9e377a, v47
	s_delay_alu instid0(VALU_DEP_2) | instskip(SKIP_2) | instid1(VALU_DEP_4)
	v_fmac_f32_e32 v44, 0x3e9e377a, v49
	v_mul_f32_e32 v35, 0x3f4f1bbd, v29
	v_fma_f32 v48, 0xbf167918, v29, -v38
	v_add_f32_e32 v38, v45, v42
	s_delay_alu instid0(VALU_DEP_4) | instskip(NEXT) | instid1(VALU_DEP_4)
	v_dual_sub_f32 v40, v45, v42 :: v_dual_add_f32 v39, v43, v44
	v_fma_f32 v47, 0x3f167918, v30, -v35
	v_add_f32_e32 v30, v18, v32
	v_dual_sub_f32 v32, v18, v32 :: v_dual_add_f32 v35, v37, v41
	v_dual_sub_f32 v37, v37, v41 :: v_dual_add_f32 v18, v10, v12
	v_fma_f32 v23, 0xbf737871, v23, -v22
	v_sub_f32_e32 v41, v43, v44
	v_dual_add_f32 v42, v15, v47 :: v_dual_add_f32 v43, v46, v48
	v_sub_f32_e32 v44, v15, v47
	v_sub_f32_e32 v15, v19, v10
	;; [unrolled: 1-line block ×4, first 2 shown]
	v_fma_f32 v46, -0.5, v50, v76
	v_add_f32_e32 v22, v83, v23
	v_sub_f32_e32 v48, v10, v19
	v_add_f32_e32 v15, v15, v47
	s_delay_alu instid0(VALU_DEP_4) | instskip(SKIP_3) | instid1(VALU_DEP_4)
	v_dual_add_f32 v47, v76, v19 :: v_dual_fmamk_f32 v52, v51, 0xbf737871, v46
	v_sub_f32_e32 v29, v83, v23
	v_fma_f32 v23, -0.5, v18, v76
	v_sub_f32_e32 v18, v16, v13
	v_dual_fmac_f32 v46, 0x3f737871, v51 :: v_dual_add_f32 v47, v47, v10
	v_sub_f32_e32 v50, v12, v14
	v_sub_f32_e32 v10, v10, v12
	s_delay_alu instid0(VALU_DEP_4) | instskip(SKIP_3) | instid1(VALU_DEP_4)
	v_fmamk_f32 v49, v18, 0x3f737871, v23
	v_fmac_f32_e32 v23, 0xbf737871, v18
	v_fmac_f32_e32 v52, 0x3f167918, v18
	;; [unrolled: 1-line block ×3, first 2 shown]
	v_dual_add_f32 v18, v47, v12 :: v_dual_fmac_f32 v49, 0x3f167918, v51
	s_delay_alu instid0(VALU_DEP_4) | instskip(SKIP_2) | instid1(VALU_DEP_4)
	v_fmac_f32_e32 v23, 0xbf167918, v51
	v_add_f32_e32 v47, v8, v11
	v_add_f32_e32 v12, v16, v13
	v_dual_add_f32 v48, v48, v50 :: v_dual_fmac_f32 v49, 0x3e9e377a, v15
	s_delay_alu instid0(VALU_DEP_4)
	v_fmac_f32_e32 v23, 0x3e9e377a, v15
	v_dual_add_f32 v15, v18, v14 :: v_dual_add_f32 v18, v77, v16
	v_fma_f32 v47, -0.5, v47, v77
	v_fmac_f32_e32 v77, -0.5, v12
	v_fmac_f32_e32 v52, 0x3e9e377a, v48
	v_fmac_f32_e32 v46, 0x3e9e377a, v48
	v_add_f32_e32 v18, v18, v8
	v_sub_f32_e32 v14, v19, v14
	v_sub_f32_e32 v48, v13, v11
	v_dual_fmamk_f32 v50, v10, 0x3f737871, v77 :: v_dual_sub_f32 v51, v7, v9
	s_delay_alu instid0(VALU_DEP_4) | instskip(SKIP_1) | instid1(VALU_DEP_3)
	v_dual_sub_f32 v19, v16, v8 :: v_dual_add_f32 v18, v18, v11
	v_dual_sub_f32 v8, v8, v16 :: v_dual_sub_f32 v11, v11, v13
	v_fmac_f32_e32 v50, 0xbf167918, v14
	v_sub_f32_e32 v16, v0, v6
	s_delay_alu instid0(VALU_DEP_4) | instskip(NEXT) | instid1(VALU_DEP_4)
	v_dual_add_f32 v12, v18, v13 :: v_dual_sub_f32 v13, v9, v7
	v_dual_add_f32 v8, v8, v11 :: v_dual_sub_f32 v11, v1, v4
	v_dual_add_f32 v19, v19, v48 :: v_dual_fmamk_f32 v48, v14, 0xbf737871, v47
	v_fmac_f32_e32 v47, 0x3f737871, v14
	v_fmac_f32_e32 v77, 0xbf737871, v10
	s_delay_alu instid0(VALU_DEP_4) | instskip(NEXT) | instid1(VALU_DEP_4)
	v_dual_add_f32 v11, v11, v13 :: v_dual_fmac_f32 v50, 0x3e9e377a, v8
	v_dual_add_f32 v13, v20, v1 :: v_dual_fmac_f32 v48, 0xbf167918, v10
	s_delay_alu instid0(VALU_DEP_3) | instskip(NEXT) | instid1(VALU_DEP_2)
	v_dual_fmac_f32 v77, 0x3f167918, v14 :: v_dual_add_f32 v14, v1, v9
	v_add_f32_e32 v13, v13, v4
	v_dual_fmac_f32 v47, 0x3f167918, v10 :: v_dual_add_f32 v10, v4, v7
	s_delay_alu instid0(VALU_DEP_2) | instskip(NEXT) | instid1(VALU_DEP_2)
	v_dual_fmac_f32 v77, 0x3e9e377a, v8 :: v_dual_add_f32 v8, v13, v7
	v_fma_f32 v10, -0.5, v10, v20
	v_fmac_f32_e32 v20, -0.5, v14
	v_sub_f32_e32 v14, v4, v1
	v_fmac_f32_e32 v48, 0x3e9e377a, v19
	v_sub_f32_e32 v4, v4, v7
	v_fmamk_f32 v18, v16, 0x3f737871, v10
	v_fmac_f32_e32 v10, 0xbf737871, v16
	v_add_f32_e32 v14, v14, v51
	v_fmac_f32_e32 v47, 0x3e9e377a, v19
	v_sub_f32_e32 v19, v2, v5
	v_sub_f32_e32 v1, v1, v9
	v_add_f32_e32 v7, v0, v6
	s_delay_alu instid0(VALU_DEP_3) | instskip(NEXT) | instid1(VALU_DEP_1)
	v_dual_sub_f32 v13, v0, v2 :: v_dual_fmac_f32 v10, 0xbf167918, v19
	v_fmac_f32_e32 v10, 0x3e9e377a, v11
	v_fmac_f32_e32 v18, 0x3f167918, v19
	s_delay_alu instid0(VALU_DEP_1) | instskip(SKIP_1) | instid1(VALU_DEP_1)
	v_dual_fmac_f32 v18, 0x3e9e377a, v11 :: v_dual_add_f32 v11, v8, v9
	v_add_f32_e32 v8, v2, v5
	v_fma_f32 v8, -0.5, v8, v17
	v_add_f32_e32 v9, v17, v0
	v_dual_fmac_f32 v17, -0.5, v7 :: v_dual_sub_f32 v0, v2, v0
	s_delay_alu instid0(VALU_DEP_2) | instskip(SKIP_4) | instid1(VALU_DEP_4)
	v_add_f32_e32 v7, v9, v2
	v_sub_f32_e32 v9, v5, v6
	v_fmamk_f32 v53, v19, 0xbf737871, v20
	v_fmac_f32_e32 v20, 0x3f737871, v19
	v_fmamk_f32 v2, v1, 0xbf737871, v8
	v_dual_mul_f32 v19, 0xbf167918, v18 :: v_dual_add_f32 v0, v0, v9
	s_delay_alu instid0(VALU_DEP_4) | instskip(NEXT) | instid1(VALU_DEP_4)
	v_fmac_f32_e32 v53, 0x3f167918, v16
	v_fmac_f32_e32 v20, 0xbf167918, v16
	v_fmamk_f32 v16, v4, 0x3f737871, v17
	v_fmac_f32_e32 v2, 0xbf167918, v4
	v_fmac_f32_e32 v8, 0x3f737871, v1
	s_delay_alu instid0(VALU_DEP_4) | instskip(NEXT) | instid1(VALU_DEP_4)
	v_fmac_f32_e32 v20, 0x3e9e377a, v14
	v_fmac_f32_e32 v16, 0xbf167918, v1
	v_dual_fmac_f32 v53, 0x3e9e377a, v14 :: v_dual_sub_f32 v14, v6, v5
	s_delay_alu instid0(VALU_DEP_4) | instskip(NEXT) | instid1(VALU_DEP_2)
	v_fmac_f32_e32 v8, 0x3f167918, v4
	v_dual_fmac_f32 v16, 0x3e9e377a, v0 :: v_dual_add_f32 v13, v13, v14
	s_delay_alu instid0(VALU_DEP_1) | instskip(NEXT) | instid1(VALU_DEP_2)
	v_mul_f32_e32 v51, 0x3f737871, v16
	v_fmac_f32_e32 v8, 0x3e9e377a, v13
	v_fmac_f32_e32 v17, 0xbf737871, v4
	v_mul_f32_e32 v4, 0x3e9e377a, v20
	v_fmac_f32_e32 v2, 0x3e9e377a, v13
	v_fmac_f32_e32 v51, 0x3e9e377a, v53
	s_delay_alu instid0(VALU_DEP_4) | instskip(NEXT) | instid1(VALU_DEP_3)
	v_fmac_f32_e32 v17, 0x3f167918, v1
	v_fmac_f32_e32 v19, 0x3f4f1bbd, v2
	s_delay_alu instid0(VALU_DEP_2) | instskip(NEXT) | instid1(VALU_DEP_1)
	v_fmac_f32_e32 v17, 0x3e9e377a, v0
	v_mul_f32_e32 v0, 0x3e9e377a, v17
	v_add_f32_e32 v5, v7, v5
	v_fma_f32 v9, 0x3f737871, v17, -v4
	v_mul_f32_e32 v1, 0x3f167918, v2
	v_mul_f32_e32 v2, 0xbf737871, v53
	v_fma_f32 v0, 0xbf737871, v20, -v0
	v_add_f32_e32 v14, v5, v6
	v_dual_mul_f32 v5, 0x3f4f1bbd, v10 :: v_dual_mul_f32 v6, 0x3f4f1bbd, v8
	s_delay_alu instid0(VALU_DEP_4) | instskip(NEXT) | instid1(VALU_DEP_4)
	v_fmac_f32_e32 v2, 0x3e9e377a, v16
	v_dual_sub_f32 v7, v77, v0 :: v_dual_add_f32 v4, v46, v9
	s_delay_alu instid0(VALU_DEP_3) | instskip(NEXT) | instid1(VALU_DEP_4)
	v_fma_f32 v20, 0x3f167918, v8, -v5
	v_fma_f32 v53, 0xbf167918, v10, -v6
	v_dual_add_f32 v5, v77, v0 :: v_dual_and_b32 v0, 0xffff, v103
	v_dual_sub_f32 v6, v46, v9 :: v_dual_fmac_f32 v1, 0x3f4f1bbd, v18
	v_add_f32_e32 v16, v52, v51
	v_dual_add_f32 v8, v15, v11 :: v_dual_add_f32 v9, v12, v14
	v_sub_f32_e32 v46, v23, v20
	v_dual_sub_f32 v10, v15, v11 :: v_dual_sub_f32 v11, v12, v14
	v_add_f32_e32 v12, v49, v1
	v_sub_f32_e32 v14, v49, v1
	v_mul_u32_u24_e32 v0, 0x960, v0
	v_lshlrev_b32_e32 v1, 3, v106
	v_dual_add_f32 v17, v50, v2 :: v_dual_sub_f32 v18, v52, v51
	v_add_f32_e32 v13, v48, v19
	v_sub_f32_e32 v15, v48, v19
	v_dual_sub_f32 v19, v50, v2 :: v_dual_add_f32 v2, v23, v20
	v_add3_u32 v0, 0, v0, v1
	v_mul_u32_u24_e32 v1, 0x960, v104
	v_lshlrev_b32_e32 v20, 3, v105
	v_dual_add_f32 v3, v47, v53 :: v_dual_add_nc_u32 v48, 0x400, v3
	s_delay_alu instid0(VALU_DEP_4) | instskip(NEXT) | instid1(VALU_DEP_3)
	v_add_nc_u32_e32 v23, 0x400, v0
	v_add3_u32 v20, 0, v1, v20
	ds_store_2addr_b64 v48, v[24:25], v[26:27] offset0:112 offset1:142
	ds_store_2addr_b64 v0, v[30:31], v[34:35] offset1:30
	ds_store_2addr_b64 v0, v[38:39], v[21:22] offset0:60 offset1:90
	ds_store_2addr_b64 v0, v[42:43], v[32:33] offset0:120 offset1:150
	;; [unrolled: 1-line block ×4, first 2 shown]
	v_lshlrev_b32_e32 v0, 1, v56
	ds_store_2addr_b64 v20, v[8:9], v[12:13] offset1:30
	v_lshrrev_b16 v12, 2, v65
	v_mov_b32_e32 v1, 0
	ds_store_2addr_b64 v20, v[16:17], v[4:5] offset0:60 offset1:90
	ds_store_2addr_b64 v20, v[2:3], v[10:11] offset0:120 offset1:150
	v_lshrrev_b16 v16, 2, v64
	v_add_nc_u32_e32 v8, 0x400, v20
	v_and_b32_e32 v12, 0xffff, v12
	v_lshlrev_b64 v[2:3], 3, v[0:1]
	v_dual_sub_f32 v47, v47, v53 :: v_dual_mov_b32 v26, v1
	ds_store_2addr_b64 v20, v[14:15], v[18:19] offset0:180 offset1:210
	ds_store_2addr_b64 v8, v[6:7], v[46:47] offset0:112 offset1:142
	v_mul_u32_u24_e32 v12, 0x6d3b, v12
	v_add_co_u32 v2, s0, s4, v2
	s_delay_alu instid0(VALU_DEP_1)
	v_add_co_ci_u32_e64 v3, s0, s5, v3, s0
	v_dual_mov_b32 v5, v1 :: v_dual_lshlrev_b32 v4, 1, v58
	v_subrev_nc_u32_e32 v8, 30, v56
	v_dual_mov_b32 v7, v1 :: v_dual_and_b32 v16, 0xffff, v16
	v_cmp_gt_u32_e64 s0, 30, v56
	v_lshrrev_b32_e32 v12, 21, v12
	v_add_nc_u32_e32 v25, 0x78, v0
	v_add_nc_u32_e32 v0, 0x12c, v0
	v_lshlrev_b64 v[4:5], 3, v[4:5]
	v_cndmask_b32_e64 v13, v8, v68, s0
	v_mul_u32_u24_e32 v16, 0x6d3b, v16
	v_mul_lo_u16 v35, 0x12c, v12
	v_lshlrev_b32_e32 v6, 1, v69
	v_lshlrev_b64 v[33:34], 3, v[0:1]
	v_lshlrev_b32_e32 v14, 1, v13
	v_lshrrev_b32_e32 v0, 21, v16
	v_sub_nc_u16 v16, v65, v35
	v_mov_b32_e32 v15, v1
	v_add_co_u32 v4, s0, s4, v4
	v_lshlrev_b64 v[6:7], 3, v[6:7]
	s_delay_alu instid0(VALU_DEP_4)
	v_and_b32_e32 v16, 0xffff, v16
	v_add_co_ci_u32_e64 v5, s0, s5, v5, s0
	v_lshlrev_b64 v[14:15], 3, v[14:15]
	s_waitcnt lgkmcnt(0)
	s_barrier
	buffer_gl0_inv
	s_clause 0x1
	global_load_b128 v[8:11], v[2:3], off offset:2376
	global_load_b128 v[17:20], v[4:5], off offset:2376
	v_add_co_u32 v6, s0, s4, v6
	s_delay_alu instid0(VALU_DEP_1)
	v_add_co_ci_u32_e64 v7, s0, s5, v7, s0
	v_add_co_u32 v14, s0, s4, v14
	v_lshlrev_b64 v[29:30], 3, v[25:26]
	v_add_co_ci_u32_e64 v15, s0, s5, v15, s0
	global_load_b128 v[21:24], v[6:7], off offset:2376
	v_lshrrev_b16 v36, 2, v63
	v_mul_lo_u16 v0, 0x12c, v0
	global_load_b128 v[25:28], v[14:15], off offset:2376
	v_add_co_u32 v14, s0, s4, v29
	s_delay_alu instid0(VALU_DEP_1)
	v_add_co_ci_u32_e64 v15, s0, s5, v30, s0
	v_and_b32_e32 v35, 0xffff, v36
	v_lshrrev_b16 v36, 2, v62
	v_sub_nc_u16 v0, v64, v0
	global_load_b128 v[29:32], v[14:15], off offset:2376
	v_add_co_u32 v14, s0, s4, v33
	s_delay_alu instid0(VALU_DEP_1)
	v_add_co_ci_u32_e64 v15, s0, s5, v34, s0
	v_mul_u32_u24_e32 v37, 0x6d3b, v35
	v_and_b32_e32 v38, 0xffff, v36
	v_cmp_lt_u32_e64 s0, 29, v56
	global_load_b128 v[33:36], v[14:15], off offset:2376
	v_and_b32_e32 v15, 0xffff, v0
	v_lshrrev_b32_e32 v14, 21, v37
	v_lshlrev_b32_e32 v37, 4, v16
	v_mul_u32_u24_e32 v41, 0x6d3b, v38
	v_mul_u32_u24_e32 v12, 0x1c20, v12
	v_lshlrev_b32_e32 v16, 3, v16
	v_mul_lo_u16 v0, 0x12c, v14
	global_load_b128 v[37:40], v37, s[4:5] offset:2376
	v_lshrrev_b32_e32 v14, 21, v41
	v_lshlrev_b32_e32 v41, 4, v15
	v_add3_u32 v12, 0, v12, v16
	v_sub_nc_u16 v0, v63, v0
	s_delay_alu instid0(VALU_DEP_4) | instskip(SKIP_3) | instid1(VALU_DEP_2)
	v_mul_lo_u16 v45, 0x12c, v14
	global_load_b128 v[41:44], v41, s[4:5] offset:2376
	v_and_b32_e32 v14, 0xffff, v0
	v_sub_nc_u16 v0, v62, v45
	v_lshlrev_b32_e32 v45, 4, v14
	s_delay_alu instid0(VALU_DEP_2)
	v_and_b32_e32 v0, 0xffff, v0
	global_load_b128 v[45:48], v45, s[4:5] offset:2376
	v_lshlrev_b32_e32 v49, 4, v0
	global_load_b128 v[49:52], v49, s[4:5] offset:2376
	ds_load_2addr_b64 v[70:73], v102 offset0:132 offset1:222
	ds_load_2addr_b64 v[74:77], v59 offset0:8 offset1:98
	;; [unrolled: 1-line block ×4, first 2 shown]
	s_waitcnt vmcnt(9) lgkmcnt(3)
	v_mul_f32_e32 v53, v9, v71
	s_waitcnt lgkmcnt(2)
	v_dual_mul_f32 v54, v9, v70 :: v_dual_mul_f32 v9, v11, v75
	v_mul_f32_e32 v55, v11, v74
	s_waitcnt vmcnt(8)
	v_mul_f32_e32 v11, v73, v18
	v_fma_f32 v53, v8, v70, -v53
	v_fmac_f32_e32 v54, v8, v71
	v_fma_f32 v74, v10, v74, -v9
	v_fmac_f32_e32 v55, v10, v75
	v_fma_f32 v75, v72, v17, -v11
	ds_load_2addr_b64 v[8:11], v92 offset0:108 offset1:198
	v_mul_f32_e32 v82, v72, v18
	v_mul_f32_e32 v18, v77, v20
	s_waitcnt vmcnt(7) lgkmcnt(2)
	v_dual_mul_f32 v83, v76, v20 :: v_dual_mul_f32 v106, v78, v22
	s_delay_alu instid0(VALU_DEP_3) | instskip(NEXT) | instid1(VALU_DEP_3)
	v_dual_fmac_f32 v82, v73, v17 :: v_dual_mul_f32 v17, v79, v22
	v_fma_f32 v76, v76, v19, -v18
	ds_load_2addr_b64 v[70:73], v93 offset0:112 offset1:202
	v_fmac_f32_e32 v83, v77, v19
	s_waitcnt vmcnt(6)
	v_mul_f32_e32 v18, v81, v26
	v_fma_f32 v77, v78, v21, -v17
	s_waitcnt lgkmcnt(2)
	v_mul_f32_e32 v17, v103, v24
	v_mul_f32_e32 v78, v102, v24
	v_dual_fmac_f32 v106, v79, v21 :: v_dual_mul_f32 v21, v105, v28
	v_lshl_add_u32 v15, v15, 3, 0
	s_delay_alu instid0(VALU_DEP_3)
	v_fmac_f32_e32 v78, v103, v23
	s_waitcnt vmcnt(4) lgkmcnt(1)
	v_mul_f32_e32 v108, v10, v34
	v_mul_f32_e32 v79, v80, v26
	v_fma_f32 v102, v102, v23, -v17
	v_fma_f32 v80, v80, v25, -v18
	ds_load_2addr_b64 v[17:20], v90 offset0:160 offset1:250
	v_fmac_f32_e32 v108, v11, v33
	v_fmac_f32_e32 v79, v81, v25
	v_fma_f32 v81, v104, v27, -v21
	ds_load_2addr_b64 v[21:24], v91 offset0:36 offset1:126
	v_mul_f32_e32 v25, v9, v30
	v_mul_f32_e32 v103, v104, v28
	v_mul_f32_e32 v104, v8, v30
	s_waitcnt lgkmcnt(2)
	v_mul_f32_e32 v26, v71, v32
	v_fma_f32 v107, v8, v29, -v25
	v_mul_f32_e32 v8, v11, v34
	v_fmac_f32_e32 v104, v9, v29
	v_mul_f32_e32 v29, v73, v36
	s_delay_alu instid0(VALU_DEP_3)
	v_fma_f32 v109, v10, v33, -v8
	ds_load_2addr_b64 v[8:11], v94 offset0:84 offset1:174
	s_waitcnt vmcnt(3) lgkmcnt(2)
	v_dual_mul_f32 v30, v18, v38 :: v_dual_fmac_f32 v103, v105, v27
	v_dual_mul_f32 v105, v70, v32 :: v_dual_mul_f32 v110, v17, v38
	v_fma_f32 v70, v70, v31, -v26
	ds_load_2addr_b64 v[25:28], v95 offset0:88 offset1:178
	v_fmac_f32_e32 v105, v71, v31
	v_dual_mul_f32 v71, v72, v36 :: v_dual_fmac_f32 v110, v18, v37
	v_fma_f32 v72, v72, v35, -v29
	s_waitcnt lgkmcnt(2)
	v_mul_f32_e32 v29, v22, v40
	s_delay_alu instid0(VALU_DEP_3)
	v_fmac_f32_e32 v71, v73, v35
	v_fma_f32 v73, v17, v37, -v30
	s_waitcnt vmcnt(2)
	v_mul_f32_e32 v17, v20, v42
	v_mul_f32_e32 v42, v19, v42
	v_fma_f32 v112, v21, v39, -v29
	s_delay_alu instid0(VALU_DEP_3)
	v_fma_f32 v113, v19, v41, -v17
	ds_load_b64 v[17:18], v84
	s_waitcnt vmcnt(1) lgkmcnt(2)
	v_mul_f32_e32 v19, v9, v46
	v_dual_mul_f32 v46, v8, v46 :: v_dual_mul_f32 v111, v21, v40
	v_mul_f32_e32 v21, v24, v44
	v_mul_f32_e32 v44, v23, v44
	v_fmac_f32_e32 v42, v20, v41
	s_waitcnt vmcnt(0) lgkmcnt(1)
	v_dual_fmac_f32 v46, v9, v45 :: v_dual_mul_f32 v9, v28, v52
	v_add_f32_e32 v40, v54, v55
	v_mul_f32_e32 v52, v27, v52
	v_fma_f32 v41, v23, v43, -v21
	v_fmac_f32_e32 v44, v24, v43
	v_mul_f32_e32 v20, v26, v48
	s_delay_alu instid0(VALU_DEP_4) | instskip(SKIP_2) | instid1(VALU_DEP_4)
	v_dual_mul_f32 v43, v25, v48 :: v_dual_fmac_f32 v52, v28, v51
	v_fma_f32 v48, v8, v45, -v19
	v_mul_f32_e32 v8, v11, v50
	v_fma_f32 v45, v25, v47, -v20
	s_delay_alu instid0(VALU_DEP_4)
	v_fmac_f32_e32 v43, v26, v47
	v_mul_f32_e32 v47, v10, v50
	v_lshlrev_b32_e32 v13, 3, v13
	v_fma_f32 v50, v10, v49, -v8
	s_waitcnt lgkmcnt(0)
	v_add_f32_e32 v10, v18, v54
	v_dual_fmac_f32 v111, v22, v39 :: v_dual_fmac_f32 v18, -0.5, v40
	ds_load_b64 v[19:20], v87
	ds_load_b64 v[21:22], v100
	;; [unrolled: 1-line block ×3, first 2 shown]
	v_add_f32_e32 v8, v17, v53
	v_add_f32_e32 v39, v53, v74
	v_dual_sub_f32 v53, v53, v74 :: v_dual_add_f32 v26, v10, v55
	v_lshl_add_u32 v10, v66, 3, 0
	s_delay_alu instid0(VALU_DEP_4) | instskip(SKIP_1) | instid1(VALU_DEP_4)
	v_add_f32_e32 v25, v8, v74
	v_lshl_add_u32 v8, v63, 3, 0
	v_fmamk_f32 v40, v53, 0xbf5db3d7, v18
	v_dual_fmac_f32 v18, 0x3f5db3d7, v53 :: v_dual_add_f32 v53, v82, v83
	v_fmac_f32_e32 v47, v11, v49
	v_fma_f32 v49, v27, v51, -v9
	v_sub_f32_e32 v51, v54, v55
	v_lshl_add_u32 v11, v67, 3, 0
	v_lshl_add_u32 v9, v64, 3, 0
	ds_load_b64 v[27:28], v11
	ds_load_b64 v[29:30], v10
	;; [unrolled: 1-line block ×4, first 2 shown]
	s_waitcnt lgkmcnt(4)
	v_dual_add_f32 v55, v24, v82 :: v_dual_fmac_f32 v24, -0.5, v53
	v_fma_f32 v17, -0.5, v39, v17
	v_sub_f32_e32 v53, v75, v76
	ds_load_b64 v[35:36], v99
	ds_load_b64 v[37:38], v98
	s_waitcnt lgkmcnt(0)
	s_barrier
	v_fmamk_f32 v39, v51, 0x3f5db3d7, v17
	v_fmac_f32_e32 v17, 0xbf5db3d7, v51
	buffer_gl0_inv
	v_add_f32_e32 v54, v23, v75
	ds_store_b64 v84, v[25:26]
	ds_store_b64 v84, v[39:40] offset:2400
	ds_store_b64 v84, v[17:18] offset:4800
	v_fmamk_f32 v26, v53, 0xbf5db3d7, v24
	v_dual_fmac_f32 v24, 0x3f5db3d7, v53 :: v_dual_add_f32 v53, v106, v78
	v_add_f32_e32 v51, v75, v76
	v_dual_add_f32 v17, v54, v76 :: v_dual_add_f32 v18, v55, v83
	v_add_f32_e32 v40, v21, v77
	s_delay_alu instid0(VALU_DEP_3) | instskip(SKIP_1) | instid1(VALU_DEP_1)
	v_fma_f32 v23, -0.5, v51, v23
	v_sub_f32_e32 v51, v82, v83
	v_fmamk_f32 v25, v51, 0x3f5db3d7, v23
	v_fmac_f32_e32 v23, 0xbf5db3d7, v51
	ds_store_b64 v101, v[17:18]
	ds_store_b64 v101, v[25:26] offset:2400
	ds_store_b64 v101, v[23:24] offset:4800
	v_dual_add_f32 v26, v79, v103 :: v_dual_add_f32 v51, v22, v106
	v_dual_add_f32 v25, v20, v79 :: v_dual_fmac_f32 v22, -0.5, v53
	v_sub_f32_e32 v53, v77, v102
	s_delay_alu instid0(VALU_DEP_3) | instskip(SKIP_2) | instid1(VALU_DEP_4)
	v_fmac_f32_e32 v20, -0.5, v26
	v_dual_sub_f32 v26, v80, v81 :: v_dual_add_f32 v39, v77, v102
	v_add_f32_e32 v24, v19, v80
	v_fmamk_f32 v18, v53, 0xbf5db3d7, v22
	v_fmac_f32_e32 v22, 0x3f5db3d7, v53
	s_delay_alu instid0(VALU_DEP_4) | instskip(SKIP_3) | instid1(VALU_DEP_1)
	v_fma_f32 v21, -0.5, v39, v21
	v_add_f32_e32 v39, v40, v102
	v_add_f32_e32 v40, v51, v78
	v_sub_f32_e32 v51, v106, v78
	v_fmamk_f32 v17, v51, 0x3f5db3d7, v21
	v_fmac_f32_e32 v21, 0xbf5db3d7, v51
	ds_store_b64 v100, v[39:40]
	ds_store_b64 v100, v[17:18] offset:2400
	ds_store_b64 v100, v[21:22] offset:4800
	v_fmamk_f32 v18, v26, 0xbf5db3d7, v20
	v_fmac_f32_e32 v20, 0x3f5db3d7, v26
	v_dual_add_f32 v26, v30, v108 :: v_dual_add_f32 v23, v80, v81
	v_cndmask_b32_e64 v51, 0, 0x1c20, s0
	v_add_f32_e32 v40, v104, v105
	v_add_f32_e32 v22, v28, v104
	s_delay_alu instid0(VALU_DEP_4)
	v_add_f32_e32 v26, v26, v71
	v_fma_f32 v19, -0.5, v23, v19
	v_dual_add_f32 v23, v24, v81 :: v_dual_add_f32 v24, v25, v103
	v_sub_f32_e32 v25, v79, v103
	v_add3_u32 v51, 0, v51, v13
	v_dual_add_f32 v13, v27, v107 :: v_dual_fmac_f32 v28, -0.5, v40
	s_delay_alu instid0(VALU_DEP_3) | instskip(SKIP_2) | instid1(VALU_DEP_4)
	v_dual_add_f32 v22, v22, v105 :: v_dual_fmamk_f32 v17, v25, 0x3f5db3d7, v19
	v_fmac_f32_e32 v19, 0xbf5db3d7, v25
	v_add_f32_e32 v25, v29, v109
	v_add_f32_e32 v21, v13, v70
	v_dual_add_f32 v40, v31, v113 :: v_dual_add_nc_u32 v13, 0x1c00, v84
	v_add_co_u32 v6, s0, 0x1000, v6
	s_delay_alu instid0(VALU_DEP_4)
	v_add_f32_e32 v25, v25, v72
	ds_store_b64 v51, v[23:24]
	ds_store_b64 v51, v[17:18] offset:2400
	ds_store_b64 v51, v[19:20] offset:4800
	ds_store_2addr_b64 v13, v[21:22], v[25:26] offset0:64 offset1:154
	v_add_f32_e32 v20, v108, v71
	v_sub_f32_e32 v22, v109, v72
	v_dual_add_f32 v18, v109, v72 :: v_dual_add_f32 v23, v110, v111
	s_delay_alu instid0(VALU_DEP_3) | instskip(SKIP_1) | instid1(VALU_DEP_3)
	v_dual_sub_f32 v21, v108, v71 :: v_dual_fmac_f32 v30, -0.5, v20
	v_sub_f32_e32 v26, v73, v112
	v_fma_f32 v29, -0.5, v18, v29
	v_dual_add_f32 v24, v35, v73 :: v_dual_add_f32 v51, v33, v48
	s_delay_alu instid0(VALU_DEP_4)
	v_fmamk_f32 v20, v22, 0xbf5db3d7, v30
	v_fmac_f32_e32 v30, 0x3f5db3d7, v22
	v_add_f32_e32 v22, v36, v110
	v_dual_add_f32 v39, v107, v70 :: v_dual_fmac_f32 v36, -0.5, v23
	v_sub_f32_e32 v19, v107, v70
	v_add_co_ci_u32_e64 v7, s0, 0, v7, s0
	s_delay_alu instid0(VALU_DEP_4) | instskip(NEXT) | instid1(VALU_DEP_4)
	v_add_f32_e32 v22, v22, v111
	v_fma_f32 v27, -0.5, v39, v27
	s_delay_alu instid0(VALU_DEP_4) | instskip(SKIP_1) | instid1(VALU_DEP_2)
	v_dual_sub_f32 v39, v104, v105 :: v_dual_fmamk_f32 v18, v19, 0xbf5db3d7, v28
	v_dual_fmac_f32 v28, 0x3f5db3d7, v19 :: v_dual_fmamk_f32 v19, v21, 0x3f5db3d7, v29
	v_fmamk_f32 v17, v39, 0x3f5db3d7, v27
	v_fmac_f32_e32 v27, 0xbf5db3d7, v39
	v_add_f32_e32 v39, v42, v44
	v_fmac_f32_e32 v29, 0xbf5db3d7, v21
	v_add_f32_e32 v21, v73, v112
	s_delay_alu instid0(VALU_DEP_1)
	v_fma_f32 v35, -0.5, v21, v35
	v_dual_add_f32 v21, v24, v112 :: v_dual_fmamk_f32 v24, v26, 0xbf5db3d7, v36
	v_fmac_f32_e32 v36, 0x3f5db3d7, v26
	v_add_f32_e32 v26, v32, v42
	v_sub_f32_e32 v42, v42, v44
	v_fmac_f32_e32 v32, -0.5, v39
	s_delay_alu instid0(VALU_DEP_3)
	v_add_f32_e32 v26, v26, v44
	v_dual_sub_f32 v44, v113, v41 :: v_dual_sub_f32 v25, v110, v111
	ds_store_2addr_b64 v92, v[17:18], v[19:20] offset0:108 offset1:198
	ds_store_2addr_b64 v94, v[27:28], v[29:30] offset0:24 offset1:114
	v_fmamk_f32 v23, v25, 0x3f5db3d7, v35
	v_fmac_f32_e32 v35, 0xbf5db3d7, v25
	v_add_f32_e32 v25, v113, v41
	s_delay_alu instid0(VALU_DEP_1)
	v_fma_f32 v31, -0.5, v25, v31
	v_add_f32_e32 v25, v40, v41
	v_fmamk_f32 v40, v44, 0xbf5db3d7, v32
	v_fmac_f32_e32 v32, 0x3f5db3d7, v44
	v_add_f32_e32 v44, v46, v43
	v_fmamk_f32 v39, v42, 0x3f5db3d7, v31
	v_add_f32_e32 v41, v48, v45
	v_dual_sub_f32 v48, v48, v45 :: v_dual_fmac_f32 v31, 0xbf5db3d7, v42
	v_add_f32_e32 v42, v34, v46
	v_fmac_f32_e32 v34, -0.5, v44
	v_sub_f32_e32 v46, v46, v43
	ds_store_b64 v12, v[21:22]
	ds_store_b64 v12, v[23:24] offset:2400
	ds_store_b64 v12, v[35:36] offset:4800
	v_lshl_add_u32 v12, v14, 3, 0
	v_add_f32_e32 v42, v42, v43
	v_fmamk_f32 v44, v48, 0xbf5db3d7, v34
	v_fmac_f32_e32 v34, 0x3f5db3d7, v48
	v_fma_f32 v33, -0.5, v41, v33
	v_dual_add_f32 v41, v51, v45 :: v_dual_add_f32 v48, v37, v50
	v_add_f32_e32 v51, v38, v47
	v_add_f32_e32 v45, v50, v49
	s_delay_alu instid0(VALU_DEP_4)
	v_fmamk_f32 v43, v46, 0x3f5db3d7, v33
	v_dual_fmac_f32 v33, 0xbf5db3d7, v46 :: v_dual_sub_f32 v50, v50, v49
	v_add_f32_e32 v46, v47, v52
	v_lshl_add_u32 v14, v0, 3, 0
	v_lshlrev_b32_e32 v0, 1, v68
	ds_store_b64 v15, v[25:26] offset:14400
	ds_store_b64 v15, v[39:40] offset:16800
	;; [unrolled: 1-line block ×4, first 2 shown]
	v_dual_fmac_f32 v38, -0.5, v46 :: v_dual_sub_f32 v53, v47, v52
	v_add_f32_e32 v46, v51, v52
	v_fma_f32 v37, -0.5, v45, v37
	s_delay_alu instid0(VALU_DEP_3) | instskip(NEXT) | instid1(VALU_DEP_2)
	v_dual_add_f32 v45, v48, v49 :: v_dual_fmamk_f32 v48, v50, 0xbf5db3d7, v38
	v_dual_fmac_f32 v38, 0x3f5db3d7, v50 :: v_dual_fmamk_f32 v47, v53, 0x3f5db3d7, v37
	v_fmac_f32_e32 v37, 0xbf5db3d7, v53
	ds_store_b64 v12, v[43:44] offset:16800
	ds_store_b64 v12, v[33:34] offset:19200
	;; [unrolled: 1-line block ×5, first 2 shown]
	v_lshlrev_b64 v[14:15], 3, v[0:1]
	v_lshlrev_b32_e32 v0, 1, v67
	s_waitcnt lgkmcnt(0)
	s_barrier
	buffer_gl0_inv
	v_add_co_u32 v12, s0, s4, v14
	s_delay_alu instid0(VALU_DEP_1) | instskip(SKIP_2) | instid1(VALU_DEP_4)
	v_add_co_ci_u32_e64 v14, s0, s5, v15, s0
	v_lshlrev_b64 v[22:23], 3, v[0:1]
	v_lshlrev_b32_e32 v0, 1, v66
	v_add_co_u32 v18, s0, 0x1000, v12
	s_delay_alu instid0(VALU_DEP_1) | instskip(NEXT) | instid1(VALU_DEP_4)
	v_add_co_ci_u32_e64 v19, s0, 0, v14, s0
	v_add_co_u32 v12, s0, s4, v22
	s_clause 0x1
	global_load_b128 v[14:17], v[6:7], off offset:3080
	global_load_b128 v[18:21], v[18:19], off offset:3080
	v_add_co_ci_u32_e64 v23, s0, s5, v23, s0
	v_lshlrev_b64 v[6:7], 3, v[0:1]
	v_add_co_u32 v22, s0, 0x1000, v12
	s_delay_alu instid0(VALU_DEP_1) | instskip(SKIP_1) | instid1(VALU_DEP_4)
	v_add_co_ci_u32_e64 v23, s0, 0, v23, s0
	v_lshlrev_b32_e32 v0, 1, v65
	v_add_co_u32 v6, s0, s4, v6
	s_delay_alu instid0(VALU_DEP_1) | instskip(NEXT) | instid1(VALU_DEP_3)
	v_add_co_ci_u32_e64 v7, s0, s5, v7, s0
	v_lshlrev_b64 v[30:31], 3, v[0:1]
	s_delay_alu instid0(VALU_DEP_3) | instskip(NEXT) | instid1(VALU_DEP_1)
	v_add_co_u32 v6, s0, 0x1000, v6
	v_add_co_ci_u32_e64 v7, s0, 0, v7, s0
	v_lshlrev_b32_e32 v0, 1, v64
	s_clause 0x1
	global_load_b128 v[22:25], v[22:23], off offset:3080
	global_load_b128 v[26:29], v[6:7], off offset:3080
	v_add_co_u32 v12, s0, s4, v30
	s_delay_alu instid0(VALU_DEP_1) | instskip(SKIP_1) | instid1(VALU_DEP_3)
	v_add_co_ci_u32_e64 v31, s0, s5, v31, s0
	v_lshlrev_b64 v[6:7], 3, v[0:1]
	v_add_co_u32 v30, s0, 0x1000, v12
	s_delay_alu instid0(VALU_DEP_1) | instskip(SKIP_1) | instid1(VALU_DEP_4)
	v_add_co_ci_u32_e64 v31, s0, 0, v31, s0
	v_lshlrev_b32_e32 v0, 1, v63
	v_add_co_u32 v6, s0, s4, v6
	s_delay_alu instid0(VALU_DEP_1) | instskip(NEXT) | instid1(VALU_DEP_3)
	v_add_co_ci_u32_e64 v7, s0, s5, v7, s0
	v_lshlrev_b64 v[38:39], 3, v[0:1]
	s_delay_alu instid0(VALU_DEP_3) | instskip(NEXT) | instid1(VALU_DEP_1)
	v_add_co_u32 v6, s0, 0x1000, v6
	v_add_co_ci_u32_e64 v7, s0, 0, v7, s0
	s_clause 0x1
	global_load_b128 v[30:33], v[30:31], off offset:3080
	global_load_b128 v[34:37], v[6:7], off offset:3080
	v_add_co_u32 v12, s0, s4, v38
	s_delay_alu instid0(VALU_DEP_1) | instskip(SKIP_1) | instid1(VALU_DEP_3)
	v_add_co_ci_u32_e64 v39, s0, s5, v39, s0
	v_lshlrev_b32_e32 v0, 1, v62
	v_add_co_u32 v38, s0, 0x1000, v12
	s_delay_alu instid0(VALU_DEP_1) | instskip(NEXT) | instid1(VALU_DEP_3)
	v_add_co_ci_u32_e64 v39, s0, 0, v39, s0
	v_lshlrev_b64 v[6:7], 3, v[0:1]
	global_load_b128 v[38:41], v[38:39], off offset:3080
	v_add_co_u32 v0, s0, s4, v6
	s_delay_alu instid0(VALU_DEP_1) | instskip(NEXT) | instid1(VALU_DEP_2)
	v_add_co_ci_u32_e64 v7, s0, s5, v7, s0
	v_add_co_u32 v6, s0, 0x1000, v0
	s_delay_alu instid0(VALU_DEP_1) | instskip(SKIP_1) | instid1(VALU_DEP_1)
	v_add_co_ci_u32_e64 v7, s0, 0, v7, s0
	v_add_co_u32 v2, s0, 0x1000, v2
	v_add_co_ci_u32_e64 v3, s0, 0, v3, s0
	s_clause 0x1
	global_load_b128 v[42:45], v[6:7], off offset:3080
	global_load_b128 v[46:49], v[2:3], off offset:3080
	v_add_co_u32 v2, s0, 0x1000, v4
	s_delay_alu instid0(VALU_DEP_1)
	v_add_co_ci_u32_e64 v3, s0, 0, v5, s0
	global_load_b128 v[2:5], v[2:3], off offset:3080
	ds_load_2addr_b64 v[50:53], v88 offset0:56 offset1:146
	ds_load_2addr_b64 v[70:73], v89 offset0:60 offset1:150
	ds_load_2addr_b64 v[74:77], v92 offset0:108 offset1:198
	ds_load_2addr_b64 v[78:81], v93 offset0:112 offset1:202
	s_waitcnt vmcnt(9) lgkmcnt(2)
	v_mul_f32_e32 v6, v71, v17
	v_mul_f32_e32 v55, v70, v17
	;; [unrolled: 1-line block ×3, first 2 shown]
	s_waitcnt vmcnt(8)
	v_dual_mul_f32 v82, v52, v19 :: v_dual_mul_f32 v7, v73, v21
	v_fma_f32 v70, v70, v16, -v6
	v_dual_mul_f32 v6, v53, v19 :: v_dual_fmac_f32 v55, v71, v16
	v_dual_mul_f32 v71, v72, v21 :: v_dual_mul_f32 v0, v51, v15
	s_delay_alu instid0(VALU_DEP_4) | instskip(NEXT) | instid1(VALU_DEP_3)
	v_fmac_f32_e32 v82, v53, v18
	v_fma_f32 v83, v52, v18, -v6
	v_fma_f32 v72, v72, v20, -v7
	s_delay_alu instid0(VALU_DEP_4)
	v_fmac_f32_e32 v71, v73, v20
	v_fma_f32 v0, v50, v14, -v0
	ds_load_2addr_b64 v[18:21], v94 offset0:84 offset1:174
	s_waitcnt vmcnt(7) lgkmcnt(1)
	v_mul_f32_e32 v7, v79, v25
	v_fmac_f32_e32 v54, v51, v14
	ds_load_2addr_b64 v[50:53], v91 offset0:36 offset1:126
	v_mul_f32_e32 v6, v75, v23
	v_mul_f32_e32 v88, v74, v23
	ds_load_2addr_b64 v[14:17], v90 offset0:160 offset1:250
	v_fma_f32 v73, v74, v22, -v6
	v_fmac_f32_e32 v88, v75, v22
	v_fma_f32 v75, v78, v24, -v7
	s_waitcnt vmcnt(6)
	v_mul_f32_e32 v7, v81, v29
	s_waitcnt vmcnt(4) lgkmcnt(1)
	v_mul_f32_e32 v91, v52, v37
	s_delay_alu instid0(VALU_DEP_1) | instskip(NEXT) | instid1(VALU_DEP_1)
	v_dual_mul_f32 v74, v78, v25 :: v_dual_fmac_f32 v91, v53, v36
	v_fmac_f32_e32 v74, v79, v24
	ds_load_2addr_b64 v[22:25], v95 offset0:88 offset1:178
	v_mul_f32_e32 v78, v76, v27
	v_dual_mul_f32 v6, v77, v27 :: v_dual_mul_f32 v79, v80, v29
	s_delay_alu instid0(VALU_DEP_2) | instskip(SKIP_2) | instid1(VALU_DEP_4)
	v_fmac_f32_e32 v78, v77, v26
	v_fma_f32 v77, v80, v28, -v7
	v_mul_f32_e32 v7, v51, v33
	v_fmac_f32_e32 v79, v81, v28
	v_mul_f32_e32 v81, v50, v33
	s_waitcnt lgkmcnt(1)
	v_mul_f32_e32 v80, v14, v31
	s_waitcnt vmcnt(3)
	v_mul_f32_e32 v12, v19, v39
	v_fma_f32 v50, v50, v32, -v7
	v_mul_f32_e32 v7, v53, v37
	v_fmac_f32_e32 v81, v51, v32
	v_fmac_f32_e32 v80, v15, v30
	s_delay_alu instid0(VALU_DEP_3)
	v_fma_f32 v52, v52, v36, -v7
	s_waitcnt lgkmcnt(0)
	v_mul_f32_e32 v53, v22, v41
	v_fma_f32 v76, v76, v26, -v6
	v_mul_f32_e32 v6, v15, v31
	v_mul_f32_e32 v26, v23, v41
	s_waitcnt vmcnt(2)
	v_dual_mul_f32 v102, v24, v45 :: v_dual_fmac_f32 v53, v23, v40
	s_delay_alu instid0(VALU_DEP_3)
	v_fma_f32 v89, v14, v30, -v6
	v_mul_f32_e32 v6, v17, v35
	v_fma_f32 v93, v22, v40, -v26
	v_mul_f32_e32 v26, v25, v45
	v_fmac_f32_e32 v102, v25, v44
	v_add_f32_e32 v45, v89, v50
	v_fma_f32 v51, v16, v34, -v6
	ds_load_b64 v[6:7], v84 offset:7200
	v_fma_f32 v103, v24, v44, -v26
	s_waitcnt vmcnt(1) lgkmcnt(0)
	v_mul_f32_e32 v27, v47, v7
	v_mul_f32_e32 v24, v47, v6
	s_delay_alu instid0(VALU_DEP_2) | instskip(SKIP_1) | instid1(VALU_DEP_3)
	v_fma_f32 v6, v46, v6, -v27
	v_mul_f32_e32 v90, v16, v35
	v_fmac_f32_e32 v24, v46, v7
	s_delay_alu instid0(VALU_DEP_2)
	v_fmac_f32_e32 v90, v17, v34
	ds_load_2addr_b64 v[14:17], v59 offset0:8 offset1:98
	v_fma_f32 v59, v18, v38, -v12
	ds_load_2addr_b32 v[12:13], v13 offset0:188 offset1:189
	s_waitcnt lgkmcnt(1)
	v_mul_f32_e32 v25, v49, v15
	v_mul_f32_e32 v26, v49, v14
	s_waitcnt vmcnt(0)
	v_mul_f32_e32 v7, v17, v5
	s_waitcnt lgkmcnt(0)
	v_dual_mul_f32 v30, v16, v5 :: v_dual_mul_f32 v33, v3, v12
	v_fma_f32 v5, v48, v14, -v25
	v_fmac_f32_e32 v26, v48, v15
	v_mul_f32_e32 v92, v18, v39
	s_delay_alu instid0(VALU_DEP_4) | instskip(SKIP_2) | instid1(VALU_DEP_4)
	v_fmac_f32_e32 v30, v17, v4
	v_dual_fmac_f32 v33, v13, v2 :: v_dual_mul_f32 v94, v20, v43
	v_dual_sub_f32 v35, v6, v5 :: v_dual_mul_f32 v18, v21, v43
	v_fmac_f32_e32 v92, v19, v38
	v_mul_f32_e32 v14, v13, v3
	s_delay_alu instid0(VALU_DEP_4)
	v_fmac_f32_e32 v94, v21, v42
	v_fma_f32 v31, v16, v4, -v7
	v_fma_f32 v95, v20, v42, -v18
	ds_load_b64 v[18:19], v87
	ds_load_b64 v[20:21], v101
	;; [unrolled: 1-line block ×3, first 2 shown]
	v_fma_f32 v32, v2, v12, -v14
	v_dual_add_f32 v3, v24, v26 :: v_dual_add_f32 v4, v6, v5
	v_sub_f32_e32 v34, v24, v26
	v_sub_f32_e32 v42, v73, v75
	v_dual_sub_f32 v36, v83, v72 :: v_dual_add_f32 v39, v88, v74
	v_add_f32_e32 v43, v78, v79
	s_waitcnt lgkmcnt(0)
	v_dual_add_f32 v7, v22, v6 :: v_dual_add_f32 v12, v23, v24
	v_fmac_f32_e32 v23, -0.5, v3
	v_fma_f32 v22, -0.5, v4, v22
	v_sub_f32_e32 v47, v80, v81
	s_delay_alu instid0(VALU_DEP_4)
	v_dual_add_f32 v2, v7, v5 :: v_dual_add_f32 v3, v12, v26
	ds_load_b64 v[6:7], v100
	ds_load_b64 v[12:13], v11
	;; [unrolled: 1-line block ×7, first 2 shown]
	v_fmamk_f32 v5, v35, 0xbf5db3d7, v23
	v_fmac_f32_e32 v23, 0x3f5db3d7, v35
	v_sub_f32_e32 v35, v82, v71
	v_fmamk_f32 v4, v34, 0x3f5db3d7, v22
	v_fmac_f32_e32 v22, 0xbf5db3d7, v34
	s_waitcnt lgkmcnt(0)
	s_barrier
	buffer_gl0_inv
	v_add_f32_e32 v34, v32, v31
	ds_store_b64 v84, v[2:3]
	ds_store_b64 v84, v[4:5] offset:7200
	ds_store_b64 v84, v[22:23] offset:14400
	v_add_f32_e32 v3, v33, v30
	v_add_f32_e32 v4, v21, v33
	v_sub_f32_e32 v5, v33, v30
	v_add_f32_e32 v23, v0, v70
	v_add_f32_e32 v37, v13, v88
	;; [unrolled: 1-line block ×3, first 2 shown]
	v_fma_f32 v20, -0.5, v34, v20
	v_add_f32_e32 v33, v54, v55
	v_fmac_f32_e32 v21, -0.5, v3
	s_delay_alu instid0(VALU_DEP_4) | instskip(SKIP_1) | instid1(VALU_DEP_4)
	v_dual_add_f32 v37, v37, v74 :: v_dual_add_f32 v2, v2, v31
	v_dual_sub_f32 v22, v32, v31 :: v_dual_add_f32 v31, v7, v54
	v_fmac_f32_e32 v7, -0.5, v33
	v_add_f32_e32 v33, v19, v82
	v_dual_add_f32 v3, v4, v30 :: v_dual_fmamk_f32 v4, v5, 0x3f5db3d7, v20
	v_dual_fmac_f32 v13, -0.5, v39 :: v_dual_fmac_f32 v20, 0xbf5db3d7, v5
	v_dual_add_f32 v41, v15, v78 :: v_dual_add_f32 v30, v6, v0
	v_fma_f32 v6, -0.5, v23, v6
	v_sub_f32_e32 v32, v54, v55
	v_dual_sub_f32 v0, v0, v70 :: v_dual_add_f32 v39, v14, v76
	v_fmamk_f32 v5, v22, 0xbf5db3d7, v21
	v_fmac_f32_e32 v21, 0x3f5db3d7, v22
	v_add_f32_e32 v23, v31, v55
	v_add_f32_e32 v31, v83, v72
	;; [unrolled: 1-line block ×3, first 2 shown]
	v_dual_add_f32 v41, v41, v79 :: v_dual_add_f32 v22, v30, v70
	v_dual_fmac_f32 v15, -0.5, v43 :: v_dual_sub_f32 v44, v76, v77
	v_add_f32_e32 v34, v82, v71
	v_dual_add_f32 v46, v27, v80 :: v_dual_add_f32 v71, v92, v53
	v_dual_add_f32 v40, v39, v77 :: v_dual_fmamk_f32 v39, v42, 0xbf5db3d7, v13
	v_dual_fmac_f32 v13, 0x3f5db3d7, v42 :: v_dual_fmamk_f32 v30, v32, 0x3f5db3d7, v6
	v_dual_fmac_f32 v6, 0xbf5db3d7, v32 :: v_dual_fmamk_f32 v43, v44, 0xbf5db3d7, v15
	v_add_f32_e32 v32, v18, v83
	v_fma_f32 v18, -0.5, v31, v18
	v_fmamk_f32 v31, v0, 0xbf5db3d7, v7
	v_dual_fmac_f32 v7, 0x3f5db3d7, v0 :: v_dual_add_f32 v54, v90, v91
	s_delay_alu instid0(VALU_DEP_4)
	v_add_f32_e32 v32, v32, v72
	v_add_f32_e32 v0, v73, v75
	;; [unrolled: 1-line block ×3, first 2 shown]
	v_dual_add_f32 v48, v80, v81 :: v_dual_fmac_f32 v15, 0x3f5db3d7, v44
	v_dual_fmac_f32 v19, -0.5, v34 :: v_dual_fmamk_f32 v34, v35, 0x3f5db3d7, v18
	v_dual_fmac_f32 v18, 0xbf5db3d7, v35 :: v_dual_add_f32 v49, v17, v90
	s_delay_alu instid0(VALU_DEP_3) | instskip(SKIP_2) | instid1(VALU_DEP_4)
	v_dual_add_f32 v38, v12, v73 :: v_dual_fmac_f32 v27, -0.5, v48
	v_fmac_f32_e32 v17, -0.5, v54
	v_fma_f32 v12, -0.5, v0, v12
	v_dual_add_f32 v49, v49, v91 :: v_dual_sub_f32 v0, v88, v74
	v_fmamk_f32 v35, v36, 0xbf5db3d7, v19
	v_dual_fmac_f32 v19, 0x3f5db3d7, v36 :: v_dual_add_f32 v36, v38, v75
	s_delay_alu instid0(VALU_DEP_3) | instskip(SKIP_3) | instid1(VALU_DEP_4)
	v_dual_add_f32 v55, v29, v92 :: v_dual_fmamk_f32 v38, v0, 0x3f5db3d7, v12
	v_fmac_f32_e32 v12, 0xbf5db3d7, v0
	v_add_f32_e32 v0, v76, v77
	v_sub_f32_e32 v70, v92, v53
	v_add_f32_e32 v53, v55, v53
	v_fmac_f32_e32 v29, -0.5, v71
	v_add_f32_e32 v71, v25, v94
	v_fma_f32 v14, -0.5, v0, v14
	v_dual_sub_f32 v0, v78, v79 :: v_dual_fmac_f32 v25, -0.5, v72
	v_sub_f32_e32 v74, v95, v103
	s_delay_alu instid0(VALU_DEP_4) | instskip(SKIP_1) | instid1(VALU_DEP_4)
	v_add_f32_e32 v71, v71, v102
	v_add_f32_e32 v54, v59, v93
	v_fmamk_f32 v42, v0, 0x3f5db3d7, v14
	v_dual_fmac_f32 v14, 0xbf5db3d7, v0 :: v_dual_add_f32 v55, v24, v95
	v_add_f32_e32 v0, v26, v89
	v_fma_f32 v26, -0.5, v45, v26
	v_add_f32_e32 v45, v46, v81
	v_fmamk_f32 v73, v74, 0xbf5db3d7, v25
	v_fmac_f32_e32 v25, 0x3f5db3d7, v74
	v_add_f32_e32 v44, v0, v50
	v_add_f32_e32 v0, v51, v52
	v_fmamk_f32 v46, v47, 0x3f5db3d7, v26
	v_fmac_f32_e32 v26, 0xbf5db3d7, v47
	v_dual_add_f32 v47, v16, v51 :: v_dual_sub_f32 v50, v89, v50
	s_delay_alu instid0(VALU_DEP_4) | instskip(SKIP_1) | instid1(VALU_DEP_3)
	v_fma_f32 v16, -0.5, v0, v16
	v_sub_f32_e32 v0, v90, v91
	v_add_f32_e32 v48, v47, v52
	s_delay_alu instid0(VALU_DEP_4) | instskip(NEXT) | instid1(VALU_DEP_3)
	v_dual_sub_f32 v52, v51, v52 :: v_dual_fmamk_f32 v47, v50, 0xbf5db3d7, v27
	v_dual_fmac_f32 v27, 0x3f5db3d7, v50 :: v_dual_fmamk_f32 v50, v0, 0x3f5db3d7, v16
	v_fmac_f32_e32 v16, 0xbf5db3d7, v0
	v_add_f32_e32 v0, v28, v59
	s_delay_alu instid0(VALU_DEP_4)
	v_fmamk_f32 v51, v52, 0xbf5db3d7, v17
	v_fmac_f32_e32 v17, 0x3f5db3d7, v52
	v_fma_f32 v28, -0.5, v54, v28
	v_sub_f32_e32 v59, v59, v93
	v_add_f32_e32 v52, v0, v93
	v_add_f32_e32 v0, v95, v103
	s_delay_alu instid0(VALU_DEP_4) | instskip(SKIP_2) | instid1(VALU_DEP_4)
	v_fmamk_f32 v54, v70, 0x3f5db3d7, v28
	v_fmac_f32_e32 v28, 0xbf5db3d7, v70
	v_add_f32_e32 v70, v55, v103
	v_fma_f32 v24, -0.5, v0, v24
	v_dual_sub_f32 v0, v94, v102 :: v_dual_fmamk_f32 v55, v59, 0xbf5db3d7, v29
	s_delay_alu instid0(VALU_DEP_1)
	v_dual_fmac_f32 v29, 0x3f5db3d7, v59 :: v_dual_fmamk_f32 v72, v0, 0x3f5db3d7, v24
	v_fmac_f32_e32 v24, 0xbf5db3d7, v0
	ds_store_b64 v101, v[2:3]
	ds_store_b64 v101, v[4:5] offset:7200
	ds_store_b64 v101, v[20:21] offset:14400
	ds_store_b64 v100, v[22:23]
	ds_store_b64 v100, v[30:31] offset:7200
	ds_store_b64 v100, v[6:7] offset:14400
	ds_store_b64 v87, v[32:33]
	ds_store_b64 v87, v[34:35] offset:7200
	ds_store_b64 v87, v[18:19] offset:14400
	ds_store_b64 v11, v[36:37]
	ds_store_b64 v11, v[38:39] offset:7200
	ds_store_b64 v11, v[12:13] offset:14400
	ds_store_b64 v10, v[40:41]
	ds_store_b64 v10, v[42:43] offset:7200
	ds_store_b64 v10, v[14:15] offset:14400
	ds_store_b64 v99, v[44:45]
	ds_store_b64 v99, v[46:47] offset:7200
	ds_store_b64 v99, v[26:27] offset:14400
	ds_store_b64 v9, v[48:49]
	ds_store_b64 v9, v[50:51] offset:7200
	ds_store_b64 v9, v[16:17] offset:14400
	ds_store_b64 v8, v[52:53]
	ds_store_b64 v8, v[54:55] offset:7200
	ds_store_b64 v8, v[28:29] offset:14400
	ds_store_b64 v98, v[70:71]
	ds_store_b64 v98, v[72:73] offset:7200
	ds_store_b64 v98, v[24:25] offset:14400
	s_waitcnt lgkmcnt(0)
	s_barrier
	buffer_gl0_inv
	ds_load_b64 v[3:4], v84
	v_sub_nc_u32_e32 v0, 0, v57
                                        ; implicit-def: $vgpr2
                                        ; implicit-def: $vgpr7
	v_cmpx_ne_u32_e32 0, v56
	s_xor_b32 s3, exec_lo, s3
	s_cbranch_execz .LBB0_15
; %bb.14:
	v_mov_b32_e32 v57, v1
	s_delay_alu instid0(VALU_DEP_1) | instskip(NEXT) | instid1(VALU_DEP_1)
	v_lshlrev_b64 v[1:2], 3, v[56:57]
	v_add_co_u32 v1, s0, s1, v1
	s_delay_alu instid0(VALU_DEP_1)
	v_add_co_ci_u32_e64 v2, s0, s2, v2, s0
	global_load_b64 v[5:6], v[1:2], off
	ds_load_b64 v[1:2], v0 offset:21600
	s_waitcnt lgkmcnt(0)
	v_dual_add_f32 v12, v2, v4 :: v_dual_sub_f32 v7, v3, v1
	v_dual_sub_f32 v2, v4, v2 :: v_dual_add_f32 v1, v1, v3
	s_delay_alu instid0(VALU_DEP_2) | instskip(SKIP_1) | instid1(VALU_DEP_1)
	v_dual_mul_f32 v3, 0.5, v12 :: v_dual_mul_f32 v4, 0.5, v7
	s_waitcnt vmcnt(0)
	v_dual_mul_f32 v2, 0.5, v2 :: v_dual_mul_f32 v7, v6, v4
	s_delay_alu instid0(VALU_DEP_1) | instskip(SKIP_1) | instid1(VALU_DEP_3)
	v_fma_f32 v12, v3, v6, v2
	v_fma_f32 v2, v3, v6, -v2
	v_fma_f32 v13, 0.5, v1, v7
	v_fma_f32 v1, v1, 0.5, -v7
	s_delay_alu instid0(VALU_DEP_4) | instskip(NEXT) | instid1(VALU_DEP_4)
	v_fma_f32 v7, -v5, v4, v12
	v_fma_f32 v2, -v5, v4, v2
	s_delay_alu instid0(VALU_DEP_4) | instskip(NEXT) | instid1(VALU_DEP_4)
	v_fmac_f32_e32 v13, v5, v3
	v_fma_f32 v1, -v5, v3, v1
                                        ; implicit-def: $vgpr3_vgpr4
	ds_store_b32 v84, v13
.LBB0_15:
	s_or_saveexec_b32 s0, s3
	v_sub_nc_u32_e32 v6, 0, v96
	v_sub_nc_u32_e32 v5, 0, v97
	s_xor_b32 exec_lo, exec_lo, s0
	s_cbranch_execz .LBB0_17
; %bb.16:
	s_waitcnt lgkmcnt(0)
	v_dual_mov_b32 v7, 0 :: v_dual_add_f32 v12, v3, v4
	v_sub_f32_e32 v1, v3, v4
	ds_load_b32 v2, v7 offset:10804
	s_waitcnt lgkmcnt(0)
	v_xor_b32_e32 v3, 0x80000000, v2
	v_mov_b32_e32 v2, v7
	ds_store_b32 v84, v12
	ds_store_b32 v7, v3 offset:10804
.LBB0_17:
	s_or_b32 exec_lo, exec_lo, s0
	v_mov_b32_e32 v59, 0
	s_waitcnt lgkmcnt(0)
	s_delay_alu instid0(VALU_DEP_1) | instskip(SKIP_1) | instid1(VALU_DEP_1)
	v_lshlrev_b64 v[3:4], 3, v[58:59]
	v_mov_b32_e32 v70, v59
	v_lshlrev_b64 v[12:13], 3, v[69:70]
	s_delay_alu instid0(VALU_DEP_3) | instskip(NEXT) | instid1(VALU_DEP_1)
	v_add_co_u32 v3, s0, s1, v3
	v_add_co_ci_u32_e64 v4, s0, s2, v4, s0
	v_mov_b32_e32 v69, v59
	s_delay_alu instid0(VALU_DEP_4)
	v_add_co_u32 v12, s0, s1, v12
	global_load_b64 v[3:4], v[3:4], off
	v_add_co_ci_u32_e64 v13, s0, s2, v13, s0
	v_lshlrev_b64 v[14:15], 3, v[68:69]
	v_mov_b32_e32 v68, v59
	global_load_b64 v[12:13], v[12:13], off
	v_add_co_u32 v14, s0, s1, v14
	s_delay_alu instid0(VALU_DEP_1) | instskip(SKIP_4) | instid1(VALU_DEP_1)
	v_add_co_ci_u32_e64 v15, s0, s2, v15, s0
	v_lshlrev_b64 v[16:17], 3, v[67:68]
	v_mov_b32_e32 v67, v59
	global_load_b64 v[14:15], v[14:15], off
	v_add_co_u32 v16, s0, s1, v16
	v_add_co_ci_u32_e64 v17, s0, s2, v17, s0
	v_lshlrev_b64 v[18:19], 3, v[66:67]
	v_mov_b32_e32 v66, v59
	global_load_b64 v[16:17], v[16:17], off
	v_add_co_u32 v18, s0, s1, v18
	s_delay_alu instid0(VALU_DEP_1) | instskip(SKIP_3) | instid1(VALU_DEP_1)
	v_add_co_ci_u32_e64 v19, s0, s2, v19, s0
	v_lshlrev_b64 v[20:21], 3, v[65:66]
	global_load_b64 v[18:19], v[18:19], off
	v_add_co_u32 v20, s0, s1, v20
	v_add_co_ci_u32_e64 v21, s0, s2, v21, s0
	global_load_b64 v[20:21], v[20:21], off
	ds_store_b32 v84, v7 offset:4
	ds_store_b64 v0, v[1:2] offset:21600
	ds_load_b64 v[1:2], v101
	ds_load_b64 v[24:25], v0 offset:20880
	s_waitcnt lgkmcnt(0)
	v_dual_sub_f32 v7, v1, v24 :: v_dual_add_f32 v26, v2, v25
	v_dual_sub_f32 v2, v2, v25 :: v_dual_mov_b32 v65, v59
	s_delay_alu instid0(VALU_DEP_2) | instskip(NEXT) | instid1(VALU_DEP_3)
	v_dual_add_f32 v24, v1, v24 :: v_dual_mul_f32 v7, 0.5, v7
	v_mul_f32_e32 v25, 0.5, v26
	s_delay_alu instid0(VALU_DEP_3) | instskip(NEXT) | instid1(VALU_DEP_4)
	v_mul_f32_e32 v2, 0.5, v2
	v_lshlrev_b64 v[22:23], 3, v[64:65]
	s_delay_alu instid0(VALU_DEP_1) | instskip(NEXT) | instid1(VALU_DEP_1)
	v_add_co_u32 v22, s0, s1, v22
	v_add_co_ci_u32_e64 v23, s0, s2, v23, s0
	global_load_b64 v[22:23], v[22:23], off
	s_waitcnt vmcnt(6)
	v_mul_f32_e32 v26, v4, v7
	v_fma_f32 v27, v25, v4, v2
	v_fma_f32 v4, v25, v4, -v2
	s_delay_alu instid0(VALU_DEP_3) | instskip(NEXT) | instid1(VALU_DEP_3)
	v_fma_f32 v1, 0.5, v24, v26
	v_fma_f32 v2, -v3, v7, v27
	s_delay_alu instid0(VALU_DEP_3) | instskip(NEXT) | instid1(VALU_DEP_3)
	v_fma_f32 v4, -v3, v7, v4
	v_fmac_f32_e32 v1, v3, v25
	v_fma_f32 v24, v24, 0.5, -v26
	s_delay_alu instid0(VALU_DEP_1)
	v_fma_f32 v3, -v3, v25, v24
	ds_store_b64 v101, v[1:2]
	ds_store_b64 v0, v[3:4] offset:20880
	ds_load_b64 v[1:2], v100
	ds_load_b64 v[3:4], v0 offset:20160
	s_waitcnt lgkmcnt(0)
	v_dual_mov_b32 v64, v59 :: v_dual_sub_f32 v7, v1, v3
	v_add_f32_e32 v26, v2, v4
	v_dual_sub_f32 v2, v2, v4 :: v_dual_add_f32 v3, v1, v3
	s_delay_alu instid0(VALU_DEP_3) | instskip(NEXT) | instid1(VALU_DEP_3)
	v_lshlrev_b64 v[24:25], 3, v[63:64]
	v_dual_mul_f32 v7, 0.5, v7 :: v_dual_mul_f32 v26, 0.5, v26
	s_delay_alu instid0(VALU_DEP_3) | instskip(SKIP_1) | instid1(VALU_DEP_2)
	v_dual_mov_b32 v63, v59 :: v_dual_mul_f32 v2, 0.5, v2
	s_waitcnt vmcnt(5)
	v_mul_f32_e32 v4, v13, v7
	s_delay_alu instid0(VALU_DEP_4) | instskip(NEXT) | instid1(VALU_DEP_3)
	v_add_co_u32 v24, s0, s1, v24
	v_fma_f32 v27, v26, v13, v2
	v_fma_f32 v13, v26, v13, -v2
	s_delay_alu instid0(VALU_DEP_4) | instskip(SKIP_1) | instid1(VALU_DEP_4)
	v_fma_f32 v1, 0.5, v3, v4
	v_add_co_ci_u32_e64 v25, s0, s2, v25, s0
	v_fma_f32 v2, -v12, v7, v27
	s_delay_alu instid0(VALU_DEP_4) | instskip(NEXT) | instid1(VALU_DEP_4)
	v_fma_f32 v13, -v12, v7, v13
	v_fmac_f32_e32 v1, v12, v26
	v_fma_f32 v28, v3, 0.5, -v4
	global_load_b64 v[24:25], v[24:25], off
	v_lshlrev_b64 v[3:4], 3, v[62:63]
	v_fma_f32 v12, -v12, v26, v28
	ds_store_b64 v100, v[1:2]
	ds_store_b64 v0, v[12:13] offset:20160
	ds_load_b64 v[1:2], v87
	ds_load_b64 v[12:13], v0 offset:19440
	v_add_co_u32 v3, s0, s1, v3
	s_delay_alu instid0(VALU_DEP_1) | instskip(SKIP_3) | instid1(VALU_DEP_1)
	v_add_co_ci_u32_e64 v4, s0, s2, v4, s0
	global_load_b64 v[3:4], v[3:4], off
	s_waitcnt lgkmcnt(0)
	v_dual_sub_f32 v7, v1, v12 :: v_dual_add_f32 v26, v2, v13
	v_dual_mul_f32 v7, 0.5, v7 :: v_dual_sub_f32 v2, v2, v13
	s_delay_alu instid0(VALU_DEP_2) | instskip(SKIP_1) | instid1(VALU_DEP_2)
	v_mul_f32_e32 v26, 0.5, v26
	s_waitcnt vmcnt(6)
	v_dual_add_f32 v12, v1, v12 :: v_dual_mul_f32 v13, v15, v7
	s_delay_alu instid0(VALU_DEP_3) | instskip(NEXT) | instid1(VALU_DEP_2)
	v_mul_f32_e32 v2, 0.5, v2
	v_fma_f32 v1, 0.5, v12, v13
	s_delay_alu instid0(VALU_DEP_2) | instskip(SKIP_1) | instid1(VALU_DEP_3)
	v_fma_f32 v27, v26, v15, v2
	v_fma_f32 v15, v26, v15, -v2
	v_fmac_f32_e32 v1, v14, v26
	v_fma_f32 v28, v12, 0.5, -v13
	s_delay_alu instid0(VALU_DEP_4) | instskip(NEXT) | instid1(VALU_DEP_4)
	v_fma_f32 v2, -v14, v7, v27
	v_fma_f32 v15, -v14, v7, v15
	s_delay_alu instid0(VALU_DEP_3)
	v_fma_f32 v14, -v14, v26, v28
	ds_store_b64 v87, v[1:2]
	ds_store_b64 v0, v[14:15] offset:19440
	ds_load_b64 v[1:2], v11
	ds_load_b64 v[14:15], v0 offset:18720
	s_waitcnt lgkmcnt(0)
	v_dual_sub_f32 v7, v1, v14 :: v_dual_add_nc_u32 v58, 0x384, v56
	v_add_f32_e32 v26, v2, v15
	v_add_f32_e32 v14, v1, v14
	s_delay_alu instid0(VALU_DEP_3) | instskip(NEXT) | instid1(VALU_DEP_3)
	v_lshlrev_b64 v[12:13], 3, v[58:59]
	v_dual_mul_f32 v7, 0.5, v7 :: v_dual_mul_f32 v26, 0.5, v26
	v_sub_f32_e32 v2, v2, v15
	s_delay_alu instid0(VALU_DEP_3) | instskip(SKIP_1) | instid1(VALU_DEP_3)
	v_add_co_u32 v12, s0, s1, v12
	s_waitcnt vmcnt(5)
	v_mul_f32_e32 v15, v17, v7
	v_add_co_ci_u32_e64 v13, s0, s2, v13, s0
	s_delay_alu instid0(VALU_DEP_2) | instskip(SKIP_4) | instid1(VALU_DEP_1)
	v_fma_f32 v1, 0.5, v14, v15
	v_fma_f32 v28, v14, 0.5, -v15
	global_load_b64 v[12:13], v[12:13], off
	v_fmac_f32_e32 v1, v16, v26
	v_mul_f32_e32 v2, 0.5, v2
	v_fma_f32 v27, v26, v17, v2
	v_fma_f32 v17, v26, v17, -v2
	s_delay_alu instid0(VALU_DEP_2) | instskip(NEXT) | instid1(VALU_DEP_2)
	v_fma_f32 v2, -v16, v7, v27
	v_fma_f32 v17, -v16, v7, v17
	;; [unrolled: 1-line block ×3, first 2 shown]
	ds_store_b64 v11, v[1:2]
	ds_store_b64 v0, v[16:17] offset:18720
	ds_load_b64 v[1:2], v10
	ds_load_b64 v[16:17], v0 offset:18000
	s_waitcnt lgkmcnt(0)
	v_dual_sub_f32 v7, v1, v16 :: v_dual_add_nc_u32 v26, v86, v6
	v_add_f32_e32 v11, v2, v17
	s_delay_alu instid0(VALU_DEP_2) | instskip(SKIP_1) | instid1(VALU_DEP_2)
	v_dual_sub_f32 v2, v2, v17 :: v_dual_mul_f32 v17, 0.5, v7
	v_add_f32_e32 v7, v1, v16
	v_dual_mul_f32 v11, 0.5, v11 :: v_dual_mul_f32 v2, 0.5, v2
	s_waitcnt vmcnt(5)
	s_delay_alu instid0(VALU_DEP_3) | instskip(NEXT) | instid1(VALU_DEP_2)
	v_mul_f32_e32 v16, v19, v17
	v_fma_f32 v27, v11, v19, v2
	v_fma_f32 v19, v11, v19, -v2
	s_delay_alu instid0(VALU_DEP_3)
	v_fma_f32 v1, 0.5, v7, v16
	v_add_nc_u32_e32 v58, 0x3de, v56
	v_fma_f32 v16, v7, 0.5, -v16
	v_fma_f32 v2, -v18, v17, v27
	v_fma_f32 v17, -v18, v17, v19
	v_fmac_f32_e32 v1, v18, v11
	v_lshlrev_b64 v[14:15], 3, v[58:59]
	v_fma_f32 v16, -v18, v11, v16
	s_delay_alu instid0(VALU_DEP_2) | instskip(NEXT) | instid1(VALU_DEP_1)
	v_add_co_u32 v14, s0, s1, v14
	v_add_co_ci_u32_e64 v15, s0, s2, v15, s0
	global_load_b64 v[14:15], v[14:15], off
	ds_store_b64 v10, v[1:2]
	ds_store_b64 v0, v[16:17] offset:18000
	ds_load_b64 v[1:2], v26
	ds_load_b64 v[10:11], v0 offset:17280
	s_waitcnt lgkmcnt(0)
	v_dual_sub_f32 v16, v1, v10 :: v_dual_add_f32 v17, v2, v11
	v_sub_f32_e32 v2, v2, v11
	v_add_f32_e32 v10, v1, v10
	s_delay_alu instid0(VALU_DEP_3) | instskip(NEXT) | instid1(VALU_DEP_4)
	v_mul_f32_e32 v16, 0.5, v16
	v_mul_f32_e32 v18, 0.5, v17
	s_waitcnt vmcnt(5)
	s_delay_alu instid0(VALU_DEP_2) | instskip(NEXT) | instid1(VALU_DEP_1)
	v_dual_mul_f32 v2, 0.5, v2 :: v_dual_mul_f32 v11, v21, v16
	v_fma_f32 v17, v18, v21, v2
	v_fma_f32 v19, v18, v21, -v2
	s_delay_alu instid0(VALU_DEP_3)
	v_fma_f32 v1, 0.5, v10, v11
	v_add_nc_u32_e32 v58, 0x438, v56
	v_fma_f32 v21, v10, 0.5, -v11
	v_fma_f32 v2, -v20, v16, v17
	v_fma_f32 v17, -v20, v16, v19
	v_fmac_f32_e32 v1, v20, v18
	v_lshlrev_b64 v[6:7], 3, v[58:59]
	v_add_nc_u32_e32 v58, 0x492, v56
	v_fma_f32 v16, -v20, v18, v21
	s_delay_alu instid0(VALU_DEP_3) | instskip(NEXT) | instid1(VALU_DEP_1)
	v_add_co_u32 v6, s0, s1, v6
	v_add_co_ci_u32_e64 v7, s0, s2, v7, s0
	s_delay_alu instid0(VALU_DEP_4)
	v_lshlrev_b64 v[10:11], 3, v[58:59]
	v_add_nc_u32_e32 v58, 0x4ec, v56
	global_load_b64 v[6:7], v[6:7], off
	ds_store_b64 v26, v[1:2]
	ds_store_b64 v0, v[16:17] offset:17280
	ds_load_b64 v[1:2], v9
	ds_load_b64 v[16:17], v0 offset:16560
	v_add_co_u32 v10, s0, s1, v10
	s_delay_alu instid0(VALU_DEP_1)
	v_add_co_ci_u32_e64 v11, s0, s2, v11, s0
	global_load_b64 v[10:11], v[10:11], off
	s_waitcnt lgkmcnt(0)
	v_add_f32_e32 v19, v2, v17
	v_sub_f32_e32 v2, v2, v17
	v_sub_f32_e32 v18, v1, v16
	s_delay_alu instid0(VALU_DEP_2) | instskip(SKIP_2) | instid1(VALU_DEP_4)
	v_dual_mul_f32 v20, 0.5, v19 :: v_dual_mul_f32 v17, 0.5, v2
	v_add_f32_e32 v19, v1, v16
	v_lshlrev_b64 v[1:2], 3, v[58:59]
	v_mul_f32_e32 v18, 0.5, v18
	s_waitcnt vmcnt(6)
	v_fma_f32 v26, v20, v23, v17
	s_delay_alu instid0(VALU_DEP_3) | instskip(NEXT) | instid1(VALU_DEP_1)
	v_add_co_u32 v1, s0, s1, v1
	v_add_co_ci_u32_e64 v2, s0, s2, v2, s0
	v_mul_f32_e32 v21, v23, v18
	v_fma_f32 v23, v20, v23, -v17
	v_fma_f32 v17, -v22, v18, v26
	global_load_b64 v[1:2], v[1:2], off
	v_fma_f32 v16, 0.5, v19, v21
	v_fma_f32 v21, v19, 0.5, -v21
	v_fma_f32 v19, -v22, v18, v23
	s_delay_alu instid0(VALU_DEP_3) | instskip(NEXT) | instid1(VALU_DEP_3)
	v_fmac_f32_e32 v16, v22, v20
	v_fma_f32 v18, -v22, v20, v21
	ds_store_b64 v9, v[16:17]
	ds_store_b64 v0, v[18:19] offset:16560
	ds_load_b64 v[16:17], v8
	ds_load_b64 v[18:19], v0 offset:15840
	s_waitcnt lgkmcnt(0)
	v_dual_sub_f32 v9, v16, v18 :: v_dual_add_f32 v20, v17, v19
	v_dual_sub_f32 v17, v17, v19 :: v_dual_add_f32 v18, v16, v18
	s_delay_alu instid0(VALU_DEP_2) | instskip(NEXT) | instid1(VALU_DEP_2)
	v_dual_mul_f32 v9, 0.5, v9 :: v_dual_mul_f32 v20, 0.5, v20
	v_mul_f32_e32 v17, 0.5, v17
	s_waitcnt vmcnt(6)
	s_delay_alu instid0(VALU_DEP_2) | instskip(NEXT) | instid1(VALU_DEP_2)
	v_mul_f32_e32 v19, v25, v9
	v_fma_f32 v21, v20, v25, v17
	v_fma_f32 v22, v20, v25, -v17
	s_delay_alu instid0(VALU_DEP_3) | instskip(SKIP_1) | instid1(VALU_DEP_4)
	v_fma_f32 v16, 0.5, v18, v19
	v_fma_f32 v18, v18, 0.5, -v19
	v_fma_f32 v17, -v24, v9, v21
	s_delay_alu instid0(VALU_DEP_4) | instskip(NEXT) | instid1(VALU_DEP_4)
	v_fma_f32 v19, -v24, v9, v22
	v_fmac_f32_e32 v16, v24, v20
	s_delay_alu instid0(VALU_DEP_4)
	v_fma_f32 v18, -v24, v20, v18
	v_add_nc_u32_e32 v20, v85, v5
	ds_store_b64 v8, v[16:17]
	ds_store_b64 v0, v[18:19] offset:15840
	ds_load_b64 v[8:9], v20
	ds_load_b64 v[16:17], v0 offset:15120
	s_waitcnt lgkmcnt(0)
	v_dual_sub_f32 v5, v8, v16 :: v_dual_add_f32 v18, v9, v17
	v_dual_sub_f32 v9, v9, v17 :: v_dual_add_f32 v8, v8, v16
	s_delay_alu instid0(VALU_DEP_2) | instskip(NEXT) | instid1(VALU_DEP_2)
	v_dual_mul_f32 v17, 0.5, v5 :: v_dual_mul_f32 v18, 0.5, v18
	v_mul_f32_e32 v5, 0.5, v9
	s_waitcnt vmcnt(5)
	s_delay_alu instid0(VALU_DEP_2) | instskip(NEXT) | instid1(VALU_DEP_2)
	v_mul_f32_e32 v9, v4, v17
	v_fma_f32 v16, v18, v4, v5
	v_fma_f32 v19, v18, v4, -v5
	s_delay_alu instid0(VALU_DEP_3) | instskip(SKIP_1) | instid1(VALU_DEP_4)
	v_fma_f32 v4, 0.5, v8, v9
	v_fma_f32 v8, v8, 0.5, -v9
	v_fma_f32 v5, -v3, v17, v16
	s_delay_alu instid0(VALU_DEP_4) | instskip(NEXT) | instid1(VALU_DEP_4)
	v_fma_f32 v9, -v3, v17, v19
	v_fmac_f32_e32 v4, v3, v18
	s_delay_alu instid0(VALU_DEP_4)
	v_fma_f32 v8, -v3, v18, v8
	ds_store_b64 v20, v[4:5]
	ds_store_b64 v0, v[8:9] offset:15120
	ds_load_b64 v[3:4], v84 offset:7200
	ds_load_b64 v[8:9], v0 offset:14400
	s_waitcnt lgkmcnt(0)
	v_dual_sub_f32 v5, v3, v8 :: v_dual_add_f32 v16, v4, v9
	v_sub_f32_e32 v4, v4, v9
	s_delay_alu instid0(VALU_DEP_2) | instskip(NEXT) | instid1(VALU_DEP_3)
	v_dual_add_f32 v8, v3, v8 :: v_dual_mul_f32 v5, 0.5, v5
	v_mul_f32_e32 v16, 0.5, v16
	s_waitcnt vmcnt(4)
	s_delay_alu instid0(VALU_DEP_2) | instskip(NEXT) | instid1(VALU_DEP_1)
	v_dual_mul_f32 v4, 0.5, v4 :: v_dual_mul_f32 v9, v13, v5
	v_fma_f32 v17, v16, v13, v4
	v_fma_f32 v13, v16, v13, -v4
	s_delay_alu instid0(VALU_DEP_3) | instskip(SKIP_1) | instid1(VALU_DEP_4)
	v_fma_f32 v3, 0.5, v8, v9
	v_fma_f32 v8, v8, 0.5, -v9
	v_fma_f32 v4, -v12, v5, v17
	s_delay_alu instid0(VALU_DEP_4) | instskip(NEXT) | instid1(VALU_DEP_4)
	v_fma_f32 v9, -v12, v5, v13
	v_fmac_f32_e32 v3, v12, v16
	s_delay_alu instid0(VALU_DEP_4)
	v_fma_f32 v8, -v12, v16, v8
	ds_store_b64 v84, v[3:4] offset:7200
	ds_store_b64 v0, v[8:9] offset:14400
	ds_load_b64 v[3:4], v84 offset:7920
	ds_load_b64 v[8:9], v0 offset:13680
	s_waitcnt lgkmcnt(0)
	v_dual_sub_f32 v5, v3, v8 :: v_dual_add_f32 v12, v4, v9
	v_sub_f32_e32 v4, v4, v9
	s_delay_alu instid0(VALU_DEP_2) | instskip(NEXT) | instid1(VALU_DEP_3)
	v_dual_add_f32 v8, v3, v8 :: v_dual_mul_f32 v5, 0.5, v5
	v_mul_f32_e32 v12, 0.5, v12
	s_waitcnt vmcnt(3)
	s_delay_alu instid0(VALU_DEP_2) | instskip(NEXT) | instid1(VALU_DEP_1)
	v_dual_mul_f32 v4, 0.5, v4 :: v_dual_mul_f32 v9, v15, v5
	v_fma_f32 v13, v12, v15, v4
	v_fma_f32 v15, v12, v15, -v4
	s_delay_alu instid0(VALU_DEP_3) | instskip(SKIP_1) | instid1(VALU_DEP_4)
	v_fma_f32 v3, 0.5, v8, v9
	v_fma_f32 v8, v8, 0.5, -v9
	v_fma_f32 v4, -v14, v5, v13
	s_delay_alu instid0(VALU_DEP_4) | instskip(NEXT) | instid1(VALU_DEP_4)
	v_fma_f32 v9, -v14, v5, v15
	v_fmac_f32_e32 v3, v14, v12
	s_delay_alu instid0(VALU_DEP_4)
	v_fma_f32 v8, -v14, v12, v8
	ds_store_b64 v84, v[3:4] offset:7920
	ds_store_b64 v0, v[8:9] offset:13680
	ds_load_b64 v[3:4], v84 offset:8640
	ds_load_b64 v[8:9], v0 offset:12960
	s_waitcnt lgkmcnt(0)
	v_dual_sub_f32 v5, v3, v8 :: v_dual_add_f32 v12, v4, v9
	v_sub_f32_e32 v4, v4, v9
	s_delay_alu instid0(VALU_DEP_2) | instskip(NEXT) | instid1(VALU_DEP_3)
	v_dual_add_f32 v8, v3, v8 :: v_dual_mul_f32 v5, 0.5, v5
	v_mul_f32_e32 v9, 0.5, v12
	s_delay_alu instid0(VALU_DEP_3) | instskip(SKIP_1) | instid1(VALU_DEP_3)
	v_mul_f32_e32 v4, 0.5, v4
	s_waitcnt vmcnt(2)
	v_mul_f32_e32 v12, v7, v5
	s_delay_alu instid0(VALU_DEP_2) | instskip(SKIP_1) | instid1(VALU_DEP_3)
	v_fma_f32 v13, v9, v7, v4
	v_fma_f32 v7, v9, v7, -v4
	v_fma_f32 v3, 0.5, v8, v12
	v_fma_f32 v8, v8, 0.5, -v12
	s_delay_alu instid0(VALU_DEP_4) | instskip(NEXT) | instid1(VALU_DEP_4)
	v_fma_f32 v4, -v6, v5, v13
	v_fma_f32 v7, -v6, v5, v7
	s_delay_alu instid0(VALU_DEP_4) | instskip(NEXT) | instid1(VALU_DEP_4)
	v_fmac_f32_e32 v3, v6, v9
	v_fma_f32 v6, -v6, v9, v8
	ds_store_b64 v84, v[3:4] offset:8640
	ds_store_b64 v0, v[6:7] offset:12960
	ds_load_b64 v[3:4], v84 offset:9360
	ds_load_b64 v[5:6], v0 offset:12240
	s_waitcnt lgkmcnt(0)
	v_dual_sub_f32 v7, v3, v5 :: v_dual_add_f32 v8, v4, v6
	v_dual_sub_f32 v4, v4, v6 :: v_dual_add_f32 v5, v3, v5
	s_delay_alu instid0(VALU_DEP_2) | instskip(NEXT) | instid1(VALU_DEP_2)
	v_dual_mul_f32 v6, 0.5, v7 :: v_dual_mul_f32 v7, 0.5, v8
	v_mul_f32_e32 v4, 0.5, v4
	s_waitcnt vmcnt(1)
	s_delay_alu instid0(VALU_DEP_2) | instskip(NEXT) | instid1(VALU_DEP_2)
	v_mul_f32_e32 v8, v11, v6
	v_fma_f32 v9, v7, v11, v4
	v_fma_f32 v11, v7, v11, -v4
	s_delay_alu instid0(VALU_DEP_3) | instskip(SKIP_1) | instid1(VALU_DEP_4)
	v_fma_f32 v3, 0.5, v5, v8
	v_fma_f32 v5, v5, 0.5, -v8
	v_fma_f32 v4, -v10, v6, v9
	s_delay_alu instid0(VALU_DEP_4) | instskip(NEXT) | instid1(VALU_DEP_4)
	v_fma_f32 v6, -v10, v6, v11
	v_fmac_f32_e32 v3, v10, v7
	s_delay_alu instid0(VALU_DEP_4)
	v_fma_f32 v5, -v10, v7, v5
	ds_store_b64 v84, v[3:4] offset:9360
	ds_store_b64 v0, v[5:6] offset:12240
	ds_load_b64 v[3:4], v84 offset:10080
	ds_load_b64 v[5:6], v0 offset:11520
	s_waitcnt lgkmcnt(0)
	v_sub_f32_e32 v7, v3, v5
	v_dual_add_f32 v3, v3, v5 :: v_dual_add_f32 v8, v4, v6
	v_sub_f32_e32 v4, v4, v6
	s_delay_alu instid0(VALU_DEP_2) | instskip(SKIP_1) | instid1(VALU_DEP_1)
	v_dual_mul_f32 v6, 0.5, v7 :: v_dual_mul_f32 v7, 0.5, v8
	s_waitcnt vmcnt(0)
	v_dual_mul_f32 v4, 0.5, v4 :: v_dual_mul_f32 v5, v2, v6
	s_delay_alu instid0(VALU_DEP_1) | instskip(SKIP_1) | instid1(VALU_DEP_3)
	v_fma_f32 v8, v7, v2, v4
	v_fma_f32 v4, v7, v2, -v4
	v_fma_f32 v2, 0.5, v3, v5
	v_fma_f32 v9, v3, 0.5, -v5
	s_delay_alu instid0(VALU_DEP_4) | instskip(NEXT) | instid1(VALU_DEP_4)
	v_fma_f32 v3, -v1, v6, v8
	v_fma_f32 v5, -v1, v6, v4
	s_delay_alu instid0(VALU_DEP_4) | instskip(NEXT) | instid1(VALU_DEP_4)
	v_fmac_f32_e32 v2, v1, v7
	v_fma_f32 v4, -v1, v7, v9
	ds_store_b64 v84, v[2:3] offset:10080
	ds_store_b64 v0, v[4:5] offset:11520
	s_waitcnt lgkmcnt(0)
	s_barrier
	buffer_gl0_inv
	s_and_saveexec_b32 s0, vcc_lo
	s_cbranch_execz .LBB0_20
; %bb.18:
	v_dual_mov_b32 v57, v59 :: v_dual_add_nc_u32 v0, 0x400, v84
	ds_load_2addr_b64 v[2:5], v84 offset1:90
	v_add_nc_u32_e32 v10, 0x800, v84
	v_add_nc_u32_e32 v14, 0x1000, v84
	ds_load_2addr_b64 v[6:9], v0 offset0:52 offset1:142
	v_lshlrev_b64 v[22:23], 3, v[56:57]
	v_add_co_u32 v0, vcc_lo, s8, v60
	v_add_co_ci_u32_e32 v1, vcc_lo, s9, v61, vcc_lo
	v_add_nc_u32_e32 v24, 0x1800, v84
	s_delay_alu instid0(VALU_DEP_3) | instskip(NEXT) | instid1(VALU_DEP_3)
	v_add_co_u32 v30, vcc_lo, v0, v22
	v_add_co_ci_u32_e32 v31, vcc_lo, v1, v23, vcc_lo
	v_add_nc_u32_e32 v18, 0x1400, v84
	ds_load_2addr_b64 v[10:13], v10 offset0:104 offset1:194
	ds_load_2addr_b64 v[14:17], v14 offset0:28 offset1:118
	ds_load_2addr_b64 v[18:21], v18 offset0:80 offset1:170
	v_add_nc_u32_e32 v28, 0x2000, v84
	ds_load_2addr_b64 v[22:25], v24 offset0:132 offset1:222
	v_add_co_u32 v26, vcc_lo, 0x1000, v30
	s_waitcnt lgkmcnt(5)
	s_clause 0x1
	global_store_b64 v[30:31], v[2:3], off
	global_store_b64 v[30:31], v[4:5], off offset:720
	s_waitcnt lgkmcnt(4)
	s_clause 0x1
	global_store_b64 v[30:31], v[6:7], off offset:1440
	global_store_b64 v[30:31], v[8:9], off offset:2160
	v_add_nc_u32_e32 v6, 0x2400, v84
	v_add_co_ci_u32_e32 v27, vcc_lo, 0, v31, vcc_lo
	ds_load_2addr_b64 v[2:5], v28 offset0:56 offset1:146
	ds_load_2addr_b64 v[6:9], v6 offset0:108 offset1:198
	v_add_co_u32 v32, vcc_lo, 0x2000, v30
	s_waitcnt lgkmcnt(5)
	s_clause 0x1
	global_store_b64 v[30:31], v[10:11], off offset:2880
	global_store_b64 v[30:31], v[12:13], off offset:3600
	s_waitcnt lgkmcnt(4)
	s_clause 0x1
	global_store_b64 v[26:27], v[14:15], off offset:224
	global_store_b64 v[26:27], v[16:17], off offset:944
	;; [unrolled: 4-line block ×4, first 2 shown]
	v_add_nc_u32_e32 v10, 0x2800, v84
	v_add_co_ci_u32_e32 v33, vcc_lo, 0, v31, vcc_lo
	v_add_nc_u32_e32 v14, 0x3000, v84
	v_add_nc_u32_e32 v18, 0x3800, v84
	;; [unrolled: 1-line block ×3, first 2 shown]
	ds_load_2addr_b64 v[10:13], v10 offset0:160 offset1:250
	ds_load_2addr_b64 v[14:17], v14 offset0:84 offset1:174
	s_waitcnt lgkmcnt(3)
	s_clause 0x1
	global_store_b64 v[32:33], v[2:3], off offset:448
	global_store_b64 v[32:33], v[4:5], off offset:1168
	s_waitcnt lgkmcnt(2)
	s_clause 0x1
	global_store_b64 v[32:33], v[6:7], off offset:1888
	global_store_b64 v[32:33], v[8:9], off offset:2608
	ds_load_2addr_b64 v[2:5], v18 offset0:8 offset1:98
	ds_load_2addr_b64 v[6:9], v19 offset0:60 offset1:150
	v_add_nc_u32_e32 v18, 0x4000, v84
	v_add_nc_u32_e32 v22, 0x4800, v84
	;; [unrolled: 1-line block ×3, first 2 shown]
	ds_load_2addr_b64 v[18:21], v18 offset0:112 offset1:202
	ds_load_2addr_b64 v[22:25], v22 offset0:36 offset1:126
	;; [unrolled: 1-line block ×3, first 2 shown]
	v_add_co_u32 v34, vcc_lo, 0x3000, v30
	v_add_co_ci_u32_e32 v35, vcc_lo, 0, v31, vcc_lo
	v_add_co_u32 v36, vcc_lo, 0x4000, v30
	v_add_co_ci_u32_e32 v37, vcc_lo, 0, v31, vcc_lo
	s_waitcnt lgkmcnt(6)
	s_clause 0x1
	global_store_b64 v[32:33], v[10:11], off offset:3328
	global_store_b64 v[32:33], v[12:13], off offset:4048
	s_waitcnt lgkmcnt(5)
	s_clause 0x1
	global_store_b64 v[34:35], v[14:15], off offset:672
	global_store_b64 v[34:35], v[16:17], off offset:1392
	s_waitcnt lgkmcnt(4)
	s_clause 0x1
	global_store_b64 v[34:35], v[2:3], off offset:2112
	global_store_b64 v[34:35], v[4:5], off offset:2832
	s_waitcnt lgkmcnt(3)
	s_clause 0x1
	global_store_b64 v[34:35], v[6:7], off offset:3552
	global_store_b64 v[36:37], v[8:9], off offset:176
	v_add_co_u32 v2, vcc_lo, 0x5000, v30
	v_add_co_ci_u32_e32 v3, vcc_lo, 0, v31, vcc_lo
	v_cmp_eq_u32_e32 vcc_lo, 0x59, v56
	s_waitcnt lgkmcnt(2)
	s_clause 0x1
	global_store_b64 v[36:37], v[18:19], off offset:896
	global_store_b64 v[36:37], v[20:21], off offset:1616
	s_waitcnt lgkmcnt(1)
	s_clause 0x1
	global_store_b64 v[36:37], v[22:23], off offset:2336
	global_store_b64 v[36:37], v[24:25], off offset:3056
	;; [unrolled: 4-line block ×3, first 2 shown]
	s_and_b32 exec_lo, exec_lo, vcc_lo
	s_cbranch_execz .LBB0_20
; %bb.19:
	v_mov_b32_e32 v2, 0
	v_add_co_u32 v0, vcc_lo, 0x5000, v0
	v_add_co_ci_u32_e32 v1, vcc_lo, 0, v1, vcc_lo
	ds_load_b64 v[2:3], v2 offset:21600
	s_waitcnt lgkmcnt(0)
	global_store_b64 v[0:1], v[2:3], off offset:1120
.LBB0_20:
	s_nop 0
	s_sendmsg sendmsg(MSG_DEALLOC_VGPRS)
	s_endpgm
	.section	.rodata,"a",@progbits
	.p2align	6, 0x0
	.amdhsa_kernel fft_rtc_fwd_len2700_factors_3_10_10_3_3_wgs_90_tpt_90_halfLds_sp_ip_CI_unitstride_sbrr_R2C_dirReg
		.amdhsa_group_segment_fixed_size 0
		.amdhsa_private_segment_fixed_size 0
		.amdhsa_kernarg_size 88
		.amdhsa_user_sgpr_count 15
		.amdhsa_user_sgpr_dispatch_ptr 0
		.amdhsa_user_sgpr_queue_ptr 0
		.amdhsa_user_sgpr_kernarg_segment_ptr 1
		.amdhsa_user_sgpr_dispatch_id 0
		.amdhsa_user_sgpr_private_segment_size 0
		.amdhsa_wavefront_size32 1
		.amdhsa_uses_dynamic_stack 0
		.amdhsa_enable_private_segment 0
		.amdhsa_system_sgpr_workgroup_id_x 1
		.amdhsa_system_sgpr_workgroup_id_y 0
		.amdhsa_system_sgpr_workgroup_id_z 0
		.amdhsa_system_sgpr_workgroup_info 0
		.amdhsa_system_vgpr_workitem_id 0
		.amdhsa_next_free_vgpr 141
		.amdhsa_next_free_sgpr 21
		.amdhsa_reserve_vcc 1
		.amdhsa_float_round_mode_32 0
		.amdhsa_float_round_mode_16_64 0
		.amdhsa_float_denorm_mode_32 3
		.amdhsa_float_denorm_mode_16_64 3
		.amdhsa_dx10_clamp 1
		.amdhsa_ieee_mode 1
		.amdhsa_fp16_overflow 0
		.amdhsa_workgroup_processor_mode 1
		.amdhsa_memory_ordered 1
		.amdhsa_forward_progress 0
		.amdhsa_shared_vgpr_count 0
		.amdhsa_exception_fp_ieee_invalid_op 0
		.amdhsa_exception_fp_denorm_src 0
		.amdhsa_exception_fp_ieee_div_zero 0
		.amdhsa_exception_fp_ieee_overflow 0
		.amdhsa_exception_fp_ieee_underflow 0
		.amdhsa_exception_fp_ieee_inexact 0
		.amdhsa_exception_int_div_zero 0
	.end_amdhsa_kernel
	.text
.Lfunc_end0:
	.size	fft_rtc_fwd_len2700_factors_3_10_10_3_3_wgs_90_tpt_90_halfLds_sp_ip_CI_unitstride_sbrr_R2C_dirReg, .Lfunc_end0-fft_rtc_fwd_len2700_factors_3_10_10_3_3_wgs_90_tpt_90_halfLds_sp_ip_CI_unitstride_sbrr_R2C_dirReg
                                        ; -- End function
	.section	.AMDGPU.csdata,"",@progbits
; Kernel info:
; codeLenInByte = 20484
; NumSgprs: 23
; NumVgprs: 141
; ScratchSize: 0
; MemoryBound: 0
; FloatMode: 240
; IeeeMode: 1
; LDSByteSize: 0 bytes/workgroup (compile time only)
; SGPRBlocks: 2
; VGPRBlocks: 17
; NumSGPRsForWavesPerEU: 23
; NumVGPRsForWavesPerEU: 141
; Occupancy: 10
; WaveLimiterHint : 1
; COMPUTE_PGM_RSRC2:SCRATCH_EN: 0
; COMPUTE_PGM_RSRC2:USER_SGPR: 15
; COMPUTE_PGM_RSRC2:TRAP_HANDLER: 0
; COMPUTE_PGM_RSRC2:TGID_X_EN: 1
; COMPUTE_PGM_RSRC2:TGID_Y_EN: 0
; COMPUTE_PGM_RSRC2:TGID_Z_EN: 0
; COMPUTE_PGM_RSRC2:TIDIG_COMP_CNT: 0
	.text
	.p2alignl 7, 3214868480
	.fill 96, 4, 3214868480
	.type	__hip_cuid_da70fa1de641ab4a,@object ; @__hip_cuid_da70fa1de641ab4a
	.section	.bss,"aw",@nobits
	.globl	__hip_cuid_da70fa1de641ab4a
__hip_cuid_da70fa1de641ab4a:
	.byte	0                               ; 0x0
	.size	__hip_cuid_da70fa1de641ab4a, 1

	.ident	"AMD clang version 19.0.0git (https://github.com/RadeonOpenCompute/llvm-project roc-6.4.0 25133 c7fe45cf4b819c5991fe208aaa96edf142730f1d)"
	.section	".note.GNU-stack","",@progbits
	.addrsig
	.addrsig_sym __hip_cuid_da70fa1de641ab4a
	.amdgpu_metadata
---
amdhsa.kernels:
  - .args:
      - .actual_access:  read_only
        .address_space:  global
        .offset:         0
        .size:           8
        .value_kind:     global_buffer
      - .offset:         8
        .size:           8
        .value_kind:     by_value
      - .actual_access:  read_only
        .address_space:  global
        .offset:         16
        .size:           8
        .value_kind:     global_buffer
      - .actual_access:  read_only
        .address_space:  global
        .offset:         24
        .size:           8
        .value_kind:     global_buffer
      - .offset:         32
        .size:           8
        .value_kind:     by_value
      - .actual_access:  read_only
        .address_space:  global
        .offset:         40
        .size:           8
        .value_kind:     global_buffer
      - .actual_access:  read_only
        .address_space:  global
        .offset:         48
        .size:           8
        .value_kind:     global_buffer
      - .offset:         56
        .size:           4
        .value_kind:     by_value
      - .actual_access:  read_only
        .address_space:  global
        .offset:         64
        .size:           8
        .value_kind:     global_buffer
      - .actual_access:  read_only
        .address_space:  global
        .offset:         72
        .size:           8
        .value_kind:     global_buffer
      - .address_space:  global
        .offset:         80
        .size:           8
        .value_kind:     global_buffer
    .group_segment_fixed_size: 0
    .kernarg_segment_align: 8
    .kernarg_segment_size: 88
    .language:       OpenCL C
    .language_version:
      - 2
      - 0
    .max_flat_workgroup_size: 90
    .name:           fft_rtc_fwd_len2700_factors_3_10_10_3_3_wgs_90_tpt_90_halfLds_sp_ip_CI_unitstride_sbrr_R2C_dirReg
    .private_segment_fixed_size: 0
    .sgpr_count:     23
    .sgpr_spill_count: 0
    .symbol:         fft_rtc_fwd_len2700_factors_3_10_10_3_3_wgs_90_tpt_90_halfLds_sp_ip_CI_unitstride_sbrr_R2C_dirReg.kd
    .uniform_work_group_size: 1
    .uses_dynamic_stack: false
    .vgpr_count:     141
    .vgpr_spill_count: 0
    .wavefront_size: 32
    .workgroup_processor_mode: 1
amdhsa.target:   amdgcn-amd-amdhsa--gfx1100
amdhsa.version:
  - 1
  - 2
...

	.end_amdgpu_metadata
